;; amdgpu-corpus repo=ROCm/rocFFT kind=compiled arch=gfx1201 opt=O3
	.text
	.amdgcn_target "amdgcn-amd-amdhsa--gfx1201"
	.amdhsa_code_object_version 6
	.protected	fft_rtc_back_len1428_factors_17_2_7_6_wgs_119_tpt_119_halfLds_half_ip_CI_unitstride_sbrr_dirReg ; -- Begin function fft_rtc_back_len1428_factors_17_2_7_6_wgs_119_tpt_119_halfLds_half_ip_CI_unitstride_sbrr_dirReg
	.globl	fft_rtc_back_len1428_factors_17_2_7_6_wgs_119_tpt_119_halfLds_half_ip_CI_unitstride_sbrr_dirReg
	.p2align	8
	.type	fft_rtc_back_len1428_factors_17_2_7_6_wgs_119_tpt_119_halfLds_half_ip_CI_unitstride_sbrr_dirReg,@function
fft_rtc_back_len1428_factors_17_2_7_6_wgs_119_tpt_119_halfLds_half_ip_CI_unitstride_sbrr_dirReg: ; @fft_rtc_back_len1428_factors_17_2_7_6_wgs_119_tpt_119_halfLds_half_ip_CI_unitstride_sbrr_dirReg
; %bb.0:
	s_clause 0x2
	s_load_b128 s[4:7], s[0:1], 0x0
	s_load_b64 s[8:9], s[0:1], 0x50
	s_load_b64 s[10:11], s[0:1], 0x18
	v_mul_u32_u24_e32 v1, 0x227, v0
	v_mov_b32_e32 v3, 0
	s_delay_alu instid0(VALU_DEP_2) | instskip(NEXT) | instid1(VALU_DEP_1)
	v_lshrrev_b32_e32 v1, 16, v1
	v_add_nc_u32_e32 v5, ttmp9, v1
	v_mov_b32_e32 v1, 0
	v_mov_b32_e32 v2, 0
	;; [unrolled: 1-line block ×3, first 2 shown]
	s_wait_kmcnt 0x0
	v_cmp_lt_u64_e64 s2, s[6:7], 2
	s_delay_alu instid0(VALU_DEP_1)
	s_and_b32 vcc_lo, exec_lo, s2
	s_cbranch_vccnz .LBB0_8
; %bb.1:
	s_load_b64 s[2:3], s[0:1], 0x10
	v_mov_b32_e32 v1, 0
	v_mov_b32_e32 v2, 0
	s_add_nc_u64 s[12:13], s[10:11], 8
	s_mov_b64 s[14:15], 1
	s_wait_kmcnt 0x0
	s_add_nc_u64 s[16:17], s[2:3], 8
	s_mov_b32 s3, 0
.LBB0_2:                                ; =>This Inner Loop Header: Depth=1
	s_load_b64 s[18:19], s[16:17], 0x0
                                        ; implicit-def: $vgpr8_vgpr9
	s_mov_b32 s2, exec_lo
	s_wait_kmcnt 0x0
	v_or_b32_e32 v4, s19, v6
	s_delay_alu instid0(VALU_DEP_1)
	v_cmpx_ne_u64_e32 0, v[3:4]
	s_wait_alu 0xfffe
	s_xor_b32 s20, exec_lo, s2
	s_cbranch_execz .LBB0_4
; %bb.3:                                ;   in Loop: Header=BB0_2 Depth=1
	s_cvt_f32_u32 s2, s18
	s_cvt_f32_u32 s21, s19
	s_sub_nc_u64 s[24:25], 0, s[18:19]
	s_wait_alu 0xfffe
	s_delay_alu instid0(SALU_CYCLE_1) | instskip(SKIP_1) | instid1(SALU_CYCLE_2)
	s_fmamk_f32 s2, s21, 0x4f800000, s2
	s_wait_alu 0xfffe
	v_s_rcp_f32 s2, s2
	s_delay_alu instid0(TRANS32_DEP_1) | instskip(SKIP_1) | instid1(SALU_CYCLE_2)
	s_mul_f32 s2, s2, 0x5f7ffffc
	s_wait_alu 0xfffe
	s_mul_f32 s21, s2, 0x2f800000
	s_wait_alu 0xfffe
	s_delay_alu instid0(SALU_CYCLE_2) | instskip(SKIP_1) | instid1(SALU_CYCLE_2)
	s_trunc_f32 s21, s21
	s_wait_alu 0xfffe
	s_fmamk_f32 s2, s21, 0xcf800000, s2
	s_cvt_u32_f32 s23, s21
	s_wait_alu 0xfffe
	s_delay_alu instid0(SALU_CYCLE_1) | instskip(SKIP_1) | instid1(SALU_CYCLE_2)
	s_cvt_u32_f32 s22, s2
	s_wait_alu 0xfffe
	s_mul_u64 s[26:27], s[24:25], s[22:23]
	s_wait_alu 0xfffe
	s_mul_hi_u32 s29, s22, s27
	s_mul_i32 s28, s22, s27
	s_mul_hi_u32 s2, s22, s26
	s_mul_i32 s30, s23, s26
	s_wait_alu 0xfffe
	s_add_nc_u64 s[28:29], s[2:3], s[28:29]
	s_mul_hi_u32 s21, s23, s26
	s_mul_hi_u32 s31, s23, s27
	s_add_co_u32 s2, s28, s30
	s_wait_alu 0xfffe
	s_add_co_ci_u32 s2, s29, s21
	s_mul_i32 s26, s23, s27
	s_add_co_ci_u32 s27, s31, 0
	s_wait_alu 0xfffe
	s_add_nc_u64 s[26:27], s[2:3], s[26:27]
	s_wait_alu 0xfffe
	v_add_co_u32 v4, s2, s22, s26
	s_delay_alu instid0(VALU_DEP_1) | instskip(SKIP_1) | instid1(VALU_DEP_1)
	s_cmp_lg_u32 s2, 0
	s_add_co_ci_u32 s23, s23, s27
	v_readfirstlane_b32 s22, v4
	s_wait_alu 0xfffe
	s_delay_alu instid0(VALU_DEP_1)
	s_mul_u64 s[24:25], s[24:25], s[22:23]
	s_wait_alu 0xfffe
	s_mul_hi_u32 s27, s22, s25
	s_mul_i32 s26, s22, s25
	s_mul_hi_u32 s2, s22, s24
	s_mul_i32 s28, s23, s24
	s_wait_alu 0xfffe
	s_add_nc_u64 s[26:27], s[2:3], s[26:27]
	s_mul_hi_u32 s21, s23, s24
	s_mul_hi_u32 s22, s23, s25
	s_wait_alu 0xfffe
	s_add_co_u32 s2, s26, s28
	s_add_co_ci_u32 s2, s27, s21
	s_mul_i32 s24, s23, s25
	s_add_co_ci_u32 s25, s22, 0
	s_wait_alu 0xfffe
	s_add_nc_u64 s[24:25], s[2:3], s[24:25]
	s_wait_alu 0xfffe
	v_add_co_u32 v4, s2, v4, s24
	s_delay_alu instid0(VALU_DEP_1) | instskip(SKIP_1) | instid1(VALU_DEP_1)
	s_cmp_lg_u32 s2, 0
	s_add_co_ci_u32 s2, s23, s25
	v_mul_hi_u32 v13, v5, v4
	s_wait_alu 0xfffe
	v_mad_co_u64_u32 v[7:8], null, v5, s2, 0
	v_mad_co_u64_u32 v[9:10], null, v6, v4, 0
	;; [unrolled: 1-line block ×3, first 2 shown]
	s_delay_alu instid0(VALU_DEP_3) | instskip(SKIP_1) | instid1(VALU_DEP_4)
	v_add_co_u32 v4, vcc_lo, v13, v7
	s_wait_alu 0xfffd
	v_add_co_ci_u32_e32 v7, vcc_lo, 0, v8, vcc_lo
	s_delay_alu instid0(VALU_DEP_2) | instskip(SKIP_1) | instid1(VALU_DEP_2)
	v_add_co_u32 v4, vcc_lo, v4, v9
	s_wait_alu 0xfffd
	v_add_co_ci_u32_e32 v4, vcc_lo, v7, v10, vcc_lo
	s_wait_alu 0xfffd
	v_add_co_ci_u32_e32 v7, vcc_lo, 0, v12, vcc_lo
	s_delay_alu instid0(VALU_DEP_2) | instskip(SKIP_1) | instid1(VALU_DEP_2)
	v_add_co_u32 v4, vcc_lo, v4, v11
	s_wait_alu 0xfffd
	v_add_co_ci_u32_e32 v9, vcc_lo, 0, v7, vcc_lo
	s_delay_alu instid0(VALU_DEP_2) | instskip(SKIP_1) | instid1(VALU_DEP_3)
	v_mul_lo_u32 v10, s19, v4
	v_mad_co_u64_u32 v[7:8], null, s18, v4, 0
	v_mul_lo_u32 v11, s18, v9
	s_delay_alu instid0(VALU_DEP_2) | instskip(NEXT) | instid1(VALU_DEP_2)
	v_sub_co_u32 v7, vcc_lo, v5, v7
	v_add3_u32 v8, v8, v11, v10
	s_delay_alu instid0(VALU_DEP_1) | instskip(SKIP_1) | instid1(VALU_DEP_1)
	v_sub_nc_u32_e32 v10, v6, v8
	s_wait_alu 0xfffd
	v_subrev_co_ci_u32_e64 v10, s2, s19, v10, vcc_lo
	v_add_co_u32 v11, s2, v4, 2
	s_wait_alu 0xf1ff
	v_add_co_ci_u32_e64 v12, s2, 0, v9, s2
	v_sub_co_u32 v13, s2, v7, s18
	v_sub_co_ci_u32_e32 v8, vcc_lo, v6, v8, vcc_lo
	s_wait_alu 0xf1ff
	v_subrev_co_ci_u32_e64 v10, s2, 0, v10, s2
	s_delay_alu instid0(VALU_DEP_3) | instskip(NEXT) | instid1(VALU_DEP_3)
	v_cmp_le_u32_e32 vcc_lo, s18, v13
	v_cmp_eq_u32_e64 s2, s19, v8
	s_wait_alu 0xfffd
	v_cndmask_b32_e64 v13, 0, -1, vcc_lo
	v_cmp_le_u32_e32 vcc_lo, s19, v10
	s_wait_alu 0xfffd
	v_cndmask_b32_e64 v14, 0, -1, vcc_lo
	v_cmp_le_u32_e32 vcc_lo, s18, v7
	;; [unrolled: 3-line block ×3, first 2 shown]
	s_wait_alu 0xfffd
	v_cndmask_b32_e64 v15, 0, -1, vcc_lo
	v_cmp_eq_u32_e32 vcc_lo, s19, v10
	s_wait_alu 0xf1ff
	s_delay_alu instid0(VALU_DEP_2)
	v_cndmask_b32_e64 v7, v15, v7, s2
	s_wait_alu 0xfffd
	v_cndmask_b32_e32 v10, v14, v13, vcc_lo
	v_add_co_u32 v13, vcc_lo, v4, 1
	s_wait_alu 0xfffd
	v_add_co_ci_u32_e32 v14, vcc_lo, 0, v9, vcc_lo
	s_delay_alu instid0(VALU_DEP_3) | instskip(SKIP_1) | instid1(VALU_DEP_2)
	v_cmp_ne_u32_e32 vcc_lo, 0, v10
	s_wait_alu 0xfffd
	v_cndmask_b32_e32 v8, v14, v12, vcc_lo
	v_cndmask_b32_e32 v10, v13, v11, vcc_lo
	v_cmp_ne_u32_e32 vcc_lo, 0, v7
	s_wait_alu 0xfffd
	s_delay_alu instid0(VALU_DEP_2)
	v_dual_cndmask_b32 v9, v9, v8 :: v_dual_cndmask_b32 v8, v4, v10
.LBB0_4:                                ;   in Loop: Header=BB0_2 Depth=1
	s_wait_alu 0xfffe
	s_and_not1_saveexec_b32 s2, s20
	s_cbranch_execz .LBB0_6
; %bb.5:                                ;   in Loop: Header=BB0_2 Depth=1
	v_cvt_f32_u32_e32 v4, s18
	s_sub_co_i32 s20, 0, s18
	s_delay_alu instid0(VALU_DEP_1) | instskip(NEXT) | instid1(TRANS32_DEP_1)
	v_rcp_iflag_f32_e32 v4, v4
	v_mul_f32_e32 v4, 0x4f7ffffe, v4
	s_delay_alu instid0(VALU_DEP_1) | instskip(SKIP_1) | instid1(VALU_DEP_1)
	v_cvt_u32_f32_e32 v4, v4
	s_wait_alu 0xfffe
	v_mul_lo_u32 v7, s20, v4
	s_delay_alu instid0(VALU_DEP_1) | instskip(NEXT) | instid1(VALU_DEP_1)
	v_mul_hi_u32 v7, v4, v7
	v_add_nc_u32_e32 v4, v4, v7
	s_delay_alu instid0(VALU_DEP_1) | instskip(NEXT) | instid1(VALU_DEP_1)
	v_mul_hi_u32 v4, v5, v4
	v_mul_lo_u32 v7, v4, s18
	v_add_nc_u32_e32 v8, 1, v4
	s_delay_alu instid0(VALU_DEP_2) | instskip(NEXT) | instid1(VALU_DEP_1)
	v_sub_nc_u32_e32 v7, v5, v7
	v_subrev_nc_u32_e32 v9, s18, v7
	v_cmp_le_u32_e32 vcc_lo, s18, v7
	s_wait_alu 0xfffd
	s_delay_alu instid0(VALU_DEP_2) | instskip(SKIP_1) | instid1(VALU_DEP_2)
	v_cndmask_b32_e32 v7, v7, v9, vcc_lo
	v_dual_mov_b32 v9, v3 :: v_dual_cndmask_b32 v4, v4, v8
	v_cmp_le_u32_e32 vcc_lo, s18, v7
	s_delay_alu instid0(VALU_DEP_2) | instskip(SKIP_1) | instid1(VALU_DEP_1)
	v_add_nc_u32_e32 v8, 1, v4
	s_wait_alu 0xfffd
	v_cndmask_b32_e32 v8, v4, v8, vcc_lo
.LBB0_6:                                ;   in Loop: Header=BB0_2 Depth=1
	s_wait_alu 0xfffe
	s_or_b32 exec_lo, exec_lo, s2
	s_load_b64 s[20:21], s[12:13], 0x0
	v_mul_lo_u32 v4, v9, s18
	v_mul_lo_u32 v7, v8, s19
	v_mad_co_u64_u32 v[10:11], null, v8, s18, 0
	s_add_nc_u64 s[14:15], s[14:15], 1
	s_add_nc_u64 s[12:13], s[12:13], 8
	s_wait_alu 0xfffe
	v_cmp_ge_u64_e64 s2, s[14:15], s[6:7]
	s_add_nc_u64 s[16:17], s[16:17], 8
	s_delay_alu instid0(VALU_DEP_2) | instskip(NEXT) | instid1(VALU_DEP_3)
	v_add3_u32 v4, v11, v7, v4
	v_sub_co_u32 v5, vcc_lo, v5, v10
	s_wait_alu 0xfffd
	s_delay_alu instid0(VALU_DEP_2) | instskip(SKIP_3) | instid1(VALU_DEP_2)
	v_sub_co_ci_u32_e32 v4, vcc_lo, v6, v4, vcc_lo
	s_and_b32 vcc_lo, exec_lo, s2
	s_wait_kmcnt 0x0
	v_mul_lo_u32 v6, s21, v5
	v_mul_lo_u32 v4, s20, v4
	v_mad_co_u64_u32 v[1:2], null, s20, v5, v[1:2]
	s_delay_alu instid0(VALU_DEP_1)
	v_add3_u32 v2, v6, v2, v4
	s_wait_alu 0xfffe
	s_cbranch_vccnz .LBB0_9
; %bb.7:                                ;   in Loop: Header=BB0_2 Depth=1
	v_dual_mov_b32 v5, v8 :: v_dual_mov_b32 v6, v9
	s_branch .LBB0_2
.LBB0_8:
	v_dual_mov_b32 v9, v6 :: v_dual_mov_b32 v8, v5
.LBB0_9:
	s_lshl_b64 s[2:3], s[6:7], 3
	v_mul_hi_u32 v3, 0x226b903, v0
	s_wait_alu 0xfffe
	s_add_nc_u64 s[2:3], s[10:11], s[2:3]
                                        ; implicit-def: $vgpr24
                                        ; implicit-def: $vgpr30
                                        ; implicit-def: $vgpr23
                                        ; implicit-def: $vgpr31
                                        ; implicit-def: $vgpr22
                                        ; implicit-def: $vgpr21
                                        ; implicit-def: $vgpr28
                                        ; implicit-def: $vgpr20
                                        ; implicit-def: $vgpr29
                                        ; implicit-def: $vgpr19
                                        ; implicit-def: $vgpr27
                                        ; implicit-def: $vgpr18
                                        ; implicit-def: $vgpr25
                                        ; implicit-def: $vgpr17
                                        ; implicit-def: $vgpr26
                                        ; implicit-def: $vgpr16
                                        ; implicit-def: $vgpr32
                                        ; implicit-def: $vgpr14
                                        ; implicit-def: $vgpr33
                                        ; implicit-def: $vgpr13
                                        ; implicit-def: $vgpr34
                                        ; implicit-def: $vgpr6
                                        ; implicit-def: $vgpr39
                                        ; implicit-def: $vgpr38
                                        ; implicit-def: $vgpr11
                                        ; implicit-def: $vgpr37
                                        ; implicit-def: $vgpr12
                                        ; implicit-def: $vgpr36
                                        ; implicit-def: $vgpr15
                                        ; implicit-def: $vgpr35
	s_load_b64 s[2:3], s[2:3], 0x0
	s_load_b64 s[0:1], s[0:1], 0x20
	s_delay_alu instid0(VALU_DEP_1) | instskip(NEXT) | instid1(VALU_DEP_1)
	v_mul_u32_u24_e32 v3, 0x77, v3
	v_sub_nc_u32_e32 v7, v0, v3
	v_mov_b32_e32 v0, 0
	s_wait_kmcnt 0x0
	v_mul_lo_u32 v4, s2, v9
	v_mul_lo_u32 v5, s3, v8
	v_mad_co_u64_u32 v[1:2], null, s2, v8, v[1:2]
	v_cmp_gt_u64_e32 vcc_lo, s[0:1], v[8:9]
	v_cmp_gt_u32_e64 s0, 0x54, v7
                                        ; implicit-def: $vgpr8
	s_delay_alu instid0(VALU_DEP_1) | instskip(NEXT) | instid1(VALU_DEP_3)
	s_and_b32 s1, vcc_lo, s0
	v_add3_u32 v2, v5, v2, v4
	v_mov_b32_e32 v4, 0
                                        ; implicit-def: $vgpr5
	s_delay_alu instid0(VALU_DEP_2)
	v_lshlrev_b64_e32 v[9:10], 2, v[1:2]
	s_wait_alu 0xfffe
	s_and_saveexec_b32 s2, s1
	s_cbranch_execz .LBB0_11
; %bb.10:
	v_mov_b32_e32 v8, 0
	s_delay_alu instid0(VALU_DEP_2) | instskip(SKIP_2) | instid1(VALU_DEP_3)
	v_add_co_u32 v2, s1, s8, v9
	s_wait_alu 0xf1ff
	v_add_co_ci_u32_e64 v3, s1, s9, v10, s1
	v_lshlrev_b64_e32 v[0:1], 2, v[7:8]
	s_delay_alu instid0(VALU_DEP_1) | instskip(SKIP_1) | instid1(VALU_DEP_2)
	v_add_co_u32 v2, s1, v2, v0
	s_wait_alu 0xf1ff
	v_add_co_ci_u32_e64 v3, s1, v3, v1, s1
	s_clause 0x10
	global_load_b32 v0, v[2:3], off
	global_load_b32 v30, v[2:3], off offset:336
	global_load_b32 v31, v[2:3], off offset:672
	;; [unrolled: 1-line block ×16, first 2 shown]
	s_wait_loadcnt 0x10
	v_lshrrev_b32_e32 v4, 16, v0
	s_wait_loadcnt 0xf
	v_lshrrev_b32_e32 v24, 16, v30
	;; [unrolled: 2-line block ×17, first 2 shown]
.LBB0_11:
	s_wait_alu 0xfffe
	s_or_b32 exec_lo, exec_lo, s2
	s_delay_alu instid0(VALU_DEP_1)
	v_sub_f16_e32 v3, v24, v6
	v_add_f16_e32 v61, v30, v39
	v_sub_f16_e32 v40, v23, v8
	v_add_f16_e32 v62, v31, v38
	v_sub_f16_e32 v41, v22, v11
	v_pk_mul_f16 v59, 0xbbf7bbb2, v3 op_sel_hi:[1,0]
	v_add_f16_e32 v57, v5, v37
	v_pk_mul_f16 v60, 0xb1e13836, v40 op_sel_hi:[1,0]
	v_sub_f16_e32 v42, v21, v12
	v_pk_mul_f16 v58, 0x3bb23964, v41 op_sel_hi:[1,0]
	v_pk_fma_f16 v1, 0x2de8b461, v61, v59 op_sel_hi:[1,0,1] neg_lo:[0,0,1] neg_hi:[0,0,1]
	v_add_f16_e32 v55, v28, v36
	v_pk_fma_f16 v2, 0xbbddbacd, v62, v60 op_sel_hi:[1,0,1] neg_lo:[0,0,1] neg_hi:[0,0,1]
	v_sub_f16_e32 v43, v20, v15
	v_pk_mul_f16 v56, 0x35c8bb29, v42 op_sel_hi:[1,0]
	v_pk_add_f16 v1, v0, v1 op_sel_hi:[0,1]
	v_pk_fma_f16 v45, 0xb46139e9, v57, v58 op_sel_hi:[1,0,1] neg_lo:[0,0,1] neg_hi:[0,0,1]
	v_add_f16_e32 v54, v29, v35
	v_sub_f16_e32 v44, v19, v13
	v_pk_mul_f16 v53, 0xbb29b1e1, v43 op_sel_hi:[1,0]
	v_pk_add_f16 v1, v1, v2
	v_pk_fma_f16 v2, 0x3b763722, v55, v56 op_sel_hi:[1,0,1] neg_lo:[0,0,1] neg_hi:[0,0,1]
	v_add_f16_e32 v51, v27, v34
	v_pk_mul_f16 v52, 0xb8363bf7, v44 op_sel_hi:[1,0]
	v_pk_fma_f16 v46, 0x3722bbdd, v54, v53 op_sel_hi:[1,0,1] neg_lo:[0,0,1] neg_hi:[0,0,1]
	v_pk_add_f16 v1, v1, v45
	v_sub_f16_e32 v45, v18, v14
	v_add_f16_e32 v49, v25, v33
	v_add_f16_e32 v47, v26, v32
	s_delay_alu instid0(VALU_DEP_4) | instskip(NEXT) | instid1(VALU_DEP_4)
	v_pk_add_f16 v1, v1, v2
	v_pk_mul_f16 v50, 0x3a62b5c8, v45 op_sel_hi:[1,0]
	v_pk_fma_f16 v2, 0xbacd2de8, v51, v52 op_sel_hi:[1,0,1] neg_lo:[0,0,1] neg_hi:[0,0,1]
	s_delay_alu instid0(VALU_DEP_3) | instskip(SKIP_1) | instid1(VALU_DEP_4)
	v_pk_add_f16 v1, v1, v46
	v_sub_f16_e32 v46, v17, v16
	v_pk_fma_f16 v63, 0xb8d23b76, v49, v50 op_sel_hi:[1,0,1] neg_lo:[0,0,1] neg_hi:[0,0,1]
	s_delay_alu instid0(VALU_DEP_3) | instskip(NEXT) | instid1(VALU_DEP_3)
	v_pk_add_f16 v1, v2, v1
	v_pk_mul_f16 v48, 0x3964ba62, v46 op_sel_hi:[1,0]
	s_delay_alu instid0(VALU_DEP_2) | instskip(NEXT) | instid1(VALU_DEP_2)
	v_pk_add_f16 v1, v63, v1
	v_pk_fma_f16 v2, 0x39e9b8d2, v47, v48 op_sel_hi:[1,0,1] neg_lo:[0,0,1] neg_hi:[0,0,1]
	s_delay_alu instid0(VALU_DEP_1)
	v_pk_add_f16 v2, v2, v1
	s_and_saveexec_b32 s1, s0
	s_cbranch_execz .LBB0_13
; %bb.12:
	v_pack_b32_f16 v63, v61, v61
	v_pack_b32_f16 v64, v3, v3
	;; [unrolled: 1-line block ×5, first 2 shown]
	v_pk_mul_f16 v84, 0xbacdb8d2, v63
	v_pk_mul_f16 v85, 0xb836ba62, v64
	v_pack_b32_f16 v68, v41, v41
	v_pk_mul_f16 v89, 0x3722b461, v65
	v_pk_mul_f16 v91, 0x3b293bb2, v66
	v_pack_b32_f16 v69, v55, v55
	v_sub_f16_e32 v90, v84, v85
	v_pack_b32_f16 v70, v42, v42
	v_pk_mul_f16 v93, 0x2de83b76, v67
	v_sub_f16_e32 v94, v89, v91
	v_pk_mul_f16 v95, 0xbbf7b5c8, v68
	v_add_f16_e32 v90, v0, v90
	v_pack_b32_f16 v71, v54, v54
	v_pack_b32_f16 v72, v43, v43
	v_pk_mul_f16 v96, 0xb8d2bacd, v69
	v_pk_mul_f16 v97, 0x3a62b836, v70
	v_add_f16_e32 v90, v90, v94
	v_sub_f16_e32 v94, v93, v95
	v_pack_b32_f16 v73, v51, v51
	v_pack_b32_f16 v74, v44, v44
	v_mul_f16_e32 v78, 0xbbdd, v61
	v_pk_mul_f16 v98, 0x3b762de8, v71
	v_add_f16_e32 v90, v90, v94
	v_sub_f16_e32 v94, v96, v97
	v_pk_mul_f16 v99, 0xb5c83bf7, v72
	v_pack_b32_f16 v75, v49, v49
	v_pack_b32_f16 v76, v45, v45
	v_mul_f16_e32 v79, 0x3b76, v62
	v_fmamk_f16 v87, v3, 0xb1e1, v78
	v_pk_mul_f16 v100, 0xbbdd39e9, v73
	v_add_f16_e32 v90, v90, v94
	v_sub_f16_e32 v94, v98, v99
	v_pk_mul_f16 v101, 0xb1e1b964, v74
	v_pk_mul_f16 v103, 0x2de8b461, v61 op_sel_hi:[1,0]
	v_mul_f16_e32 v80, 0xbacd, v57
	v_add_f16_e32 v87, v0, v87
	v_fmamk_f16 v92, v40, 0x35c8, v79
	v_pk_mul_f16 v102, 0x39e9bbdd, v75
	v_add_f16_e32 v90, v90, v94
	v_sub_f16_e32 v94, v100, v101
	v_pk_mul_f16 v104, 0x3964b1e1, v76
	v_add_f16_e32 v106, v59, v103
	v_pk_mul_f16 v107, 0xbbddbacd, v62 op_sel_hi:[1,0]
	v_mul_f16_e32 v81, 0x39e9, v55
	v_add_f16_e32 v87, v87, v92
	v_fmamk_f16 v92, v41, 0xb836, v80
	v_add_f16_e32 v90, v94, v90
	v_sub_f16_e32 v94, v102, v104
	v_add_f16_e32 v106, v0, v106
	v_add_f16_e32 v109, v60, v107
	v_pk_mul_f16 v110, 0xb46139e9, v57 op_sel_hi:[1,0]
	v_mul_f16_e32 v82, 0xb8d2, v54
	v_add_f16_e32 v87, v87, v92
	v_fmamk_f16 v92, v42, 0x3964, v81
	v_add_f16_e32 v90, v94, v90
	v_add_f16_e32 v94, v106, v109
	;; [unrolled: 1-line block ×3, first 2 shown]
	v_pk_mul_f16 v109, 0x3b763722, v55 op_sel_hi:[1,0]
	v_pk_mul_f16 v63, 0x39e93b76, v63
	v_pk_mul_f16 v112, 0xb964b5c8, v64
	v_mul_f16_e32 v83, 0x3722, v51
	v_add_f16_e32 v87, v87, v92
	v_fmamk_f16 v92, v43, 0xba62, v82
	v_add_f16_e32 v94, v94, v106
	v_add_f16_e32 v106, v56, v109
	v_pk_mul_f16 v113, 0x3722bbdd, v54 op_sel_hi:[1,0]
	v_pk_mul_f16 v65, 0x2de839e9, v65
	v_sub_f16_e32 v114, v63, v112
	v_pk_mul_f16 v115, 0xbbf7b964, v66
	v_mul_f16_e32 v86, 0xb461, v49
	v_add_f16_e32 v87, v87, v92
	v_fmamk_f16 v92, v44, 0x3b29, v83
	v_add_f16_e32 v94, v94, v106
	v_add_f16_e32 v106, v53, v113
	v_pk_mul_f16 v116, 0xbacd2de8, v51 op_sel_hi:[1,0]
	v_add_f16_e32 v114, v0, v114
	v_sub_f16_e32 v117, v65, v115
	v_pk_mul_f16 v67, 0xb8d23722, v67
	v_pk_mul_f16 v118, 0xba62bb29, v68
	v_mul_f16_e32 v88, 0x2de8, v47
	v_add_f16_e32 v87, v92, v87
	v_fmamk_f16 v92, v45, 0xbbb2, v86
	v_add_f16_e32 v94, v94, v106
	v_add_f16_e32 v106, v52, v116
	v_pk_mul_f16 v119, 0xb8d23b76, v49 op_sel_hi:[1,0]
	v_add_f16_e32 v114, v114, v117
	v_sub_f16_e32 v117, v67, v118
	v_pk_mul_f16 v69, 0xbbdd2de8, v69
	v_pk_mul_f16 v120, 0xb1e1bbf7, v70
	v_pack_b32_f16 v77, v47, v47
	v_pack_b32_f16 v1, v46, v46
	v_add_f16_e32 v87, v92, v87
	v_fmamk_f16 v92, v46, 0x3bf7, v88
	v_add_f16_e32 v94, v106, v94
	v_add_f16_e32 v106, v50, v119
	v_pk_mul_f16 v121, 0x39e9b8d2, v47 op_sel_hi:[1,0]
	v_add_f16_e32 v114, v114, v117
	v_sub_f16_e32 v117, v69, v120
	v_pk_mul_f16 v71, 0xbacdb461, v71
	v_pk_mul_f16 v122, 0x3836bbb2, v72
	;; [unrolled: 1-line block ×4, first 2 shown]
	v_add_f16_e32 v87, v92, v87
	v_add_f16_e32 v92, v106, v94
	;; [unrolled: 1-line block ×4, first 2 shown]
	v_sub_f16_e32 v114, v71, v122
	v_sub_f16_e32 v111, v105, v108
	v_perm_b32 v123, v0, v0, 0x5040100
	v_pk_fma_f16 v124, 0xb964b5c8, v64, v63
	v_add_f16_e32 v92, v94, v92
	v_add_f16_e32 v94, v106, v114
	v_mul_f16_e32 v114, 0xbb29, v3
	v_mul_f16_e32 v61, 0x3722, v61
	v_pk_mul_f16 v73, 0xb461b8d2, v73
	v_pk_mul_f16 v117, 0x3bb2ba62, v74
	v_add_f16_e32 v90, v111, v90
	v_pk_add_f16 v111, v123, v124
	v_mul_f16_e32 v124, 0xba62, v40
	v_mul_f16_e32 v62, 0xb8d2, v62
	v_bfi_b32 v59, 0xffff, v114, v59
	v_bfi_b32 v103, 0xffff, v61, v103
	v_sub_f16_e32 v106, v73, v117
	v_pk_fma_f16 v125, 0xbbf7b964, v66, v65
	v_bfi_b32 v60, 0xffff, v124, v60
	v_bfi_b32 v107, 0xffff, v62, v107
	v_pk_add_f16 v59, v59, v103
	v_add_f16_e32 v94, v106, v94
	v_pk_add_f16 v106, v111, v125
	v_pk_fma_f16 v103, 0xba62bb29, v68, v67
	v_pk_add_f16 v60, v60, v107
	v_mul_f16_e32 v107, 0x31e1, v41
	v_mul_f16_e32 v57, 0xbbdd, v57
	v_pk_add_f16 v59, v123, v59
	v_pk_add_f16 v103, v106, v103
	v_mul_f16_e32 v55, 0xb461, v55
	v_bfi_b32 v58, 0xffff, v107, v58
	v_bfi_b32 v106, 0xffff, v57, v110
	v_pk_add_f16 v59, v59, v60
	v_mul_f16_e32 v60, 0x3bb2, v42
	v_pk_fma_f16 v110, 0xb1e1bbf7, v70, v69
	v_bfi_b32 v109, 0xffff, v55, v109
	v_pk_add_f16 v58, v58, v106
	v_mul_f16_e32 v54, 0x39e9, v54
	v_bfi_b32 v56, 0xffff, v60, v56
	v_pk_add_f16 v103, v103, v110
	v_mul_f16_e32 v111, 0xb5c8, v44
	v_pk_add_f16 v58, v59, v58
	v_pk_fma_f16 v59, 0x3836bbb2, v72, v71
	v_pk_add_f16 v56, v56, v109
	v_mul_f16_e32 v109, 0x3964, v43
	v_mul_f16_e32 v51, 0x3b76, v51
	v_pk_mul_f16 v75, 0x3722bacd, v75
	v_pk_add_f16 v59, v103, v59
	v_pk_add_f16 v56, v58, v56
	v_bfi_b32 v53, 0xffff, v109, v53
	v_bfi_b32 v58, 0xffff, v54, v113
	v_pk_fma_f16 v103, 0x3bb2ba62, v74, v73
	v_bfi_b32 v52, 0xffff, v111, v52
	v_add_f16_e32 v0, v0, v30
	v_pk_fma_f16 v64, 0xb836ba62, v64, v84
	v_pk_add_f16 v53, v53, v58
	v_pk_add_f16 v58, v103, v59
	v_bfi_b32 v59, 0xffff, v51, v116
	v_pk_fma_f16 v103, 0x3b29b836, v76, v75
	v_add_f16_e32 v0, v0, v31
	v_pk_add_f16 v53, v56, v53
	v_pk_add_f16 v64, v123, v64
	;; [unrolled: 1-line block ×3, first 2 shown]
	v_pk_mul_f16 v59, 0x3b76bbdd, v77
	v_pk_add_f16 v56, v103, v58
	v_pk_fma_f16 v66, 0x3b293bb2, v66, v89
	v_add_f16_e32 v0, v0, v5
	v_pk_add_f16 v52, v52, v53
	v_pk_fma_f16 v103, 0x35c8b1e1, v1, v59
	v_mul_f16_e32 v3, 0xb1e1, v3
	v_mul_f16_e32 v40, 0x35c8, v40
	v_add_f16_e32 v0, v0, v28
	v_mul_f16_e32 v41, 0xb836, v41
	v_pk_add_f16 v53, v103, v56
	v_pk_add_f16 v56, v64, v66
	v_pk_fma_f16 v64, 0xbbf7b5c8, v68, v93
	v_add_f16_e32 v0, v0, v29
	v_bfi_b32 v3, 0xffff, v3, v85
	v_bfi_b32 v40, 0xffff, v40, v91
	v_mul_f16_e32 v42, 0x3964, v42
	v_pk_add_f16 v56, v56, v64
	v_pk_fma_f16 v64, 0x3a62b836, v70, v96
	v_add_f16_e32 v0, v0, v27
	v_bfi_b32 v70, 0xffff, v79, v89
	v_bfi_b32 v41, 0xffff, v41, v95
	v_mul_f16_e32 v43, 0xba62, v43
	v_pk_add_f16 v56, v56, v64
	v_bfi_b32 v64, 0xffff, v78, v84
	v_add_f16_e32 v0, v0, v25
	v_pk_add_f16 v40, v70, v40 neg_lo:[0,1] neg_hi:[0,1]
	v_bfi_b32 v42, 0xffff, v42, v97
	v_mul_f16_e32 v58, 0xbbf7, v45
	v_pk_add_f16 v3, v64, v3 neg_lo:[0,1] neg_hi:[0,1]
	v_bfi_b32 v64, 0xffff, v80, v93
	v_add_f16_e32 v0, v0, v26
	v_mul_f16_e32 v49, 0x2de8, v49
	v_bfi_b32 v43, 0xffff, v43, v99
	v_pk_add_f16 v3, v123, v3
	v_bfi_b32 v50, 0xffff, v58, v50
	v_add_f16_e32 v0, v0, v32
	v_bfi_b32 v77, 0xffff, v49, v119
	v_mul_f16_e32 v44, 0x3b29, v44
	v_pk_add_f16 v3, v3, v40
	v_pk_add_f16 v40, v64, v41 neg_lo:[0,1] neg_hi:[0,1]
	v_bfi_b32 v41, 0xffff, v61, v63
	v_bfi_b32 v61, 0xffff, v114, v112
	;; [unrolled: 1-line block ×3, first 2 shown]
	v_add_f16_e32 v0, v0, v33
	v_pk_add_f16 v3, v3, v40
	v_bfi_b32 v57, 0xffff, v57, v67
	v_pk_add_f16 v40, v41, v61 neg_lo:[0,1] neg_hi:[0,1]
	v_bfi_b32 v41, 0xffff, v62, v65
	v_bfi_b32 v61, 0xffff, v124, v115
	v_pk_add_f16 v42, v64, v42 neg_lo:[0,1] neg_hi:[0,1]
	v_bfi_b32 v62, 0xffff, v82, v98
	v_pk_add_f16 v40, v123, v40
	v_add_f16_e32 v0, v0, v34
	v_pk_add_f16 v41, v41, v61 neg_lo:[0,1] neg_hi:[0,1]
	v_bfi_b32 v61, 0xffff, v107, v118
	v_pk_add_f16 v3, v3, v42
	v_pk_add_f16 v42, v62, v43 neg_lo:[0,1] neg_hi:[0,1]
	v_pk_add_f16 v50, v50, v77
	v_mul_f16_e32 v45, 0xbbb2, v45
	v_pk_add_f16 v40, v40, v41
	v_pk_add_f16 v41, v57, v61 neg_lo:[0,1] neg_hi:[0,1]
	v_bfi_b32 v43, 0xffff, v55, v69
	v_bfi_b32 v55, 0xffff, v60, v120
	v_pk_add_f16 v3, v3, v42
	v_bfi_b32 v42, 0xffff, v83, v100
	v_bfi_b32 v44, 0xffff, v44, v101
	v_add_f16_e32 v0, v0, v35
	v_pk_add_f16 v50, v50, v52
	v_mul_f16_e32 v52, 0xb836, v46
	v_mul_f16_e32 v47, 0xbacd, v47
	v_pk_fma_f16 v68, 0xb5c83bf7, v72, v98
	v_pk_add_f16 v40, v40, v41
	v_pk_add_f16 v41, v43, v55 neg_lo:[0,1] neg_hi:[0,1]
	v_bfi_b32 v43, 0xffff, v54, v71
	v_bfi_b32 v54, 0xffff, v109, v122
	v_pk_add_f16 v42, v42, v44 neg_lo:[0,1] neg_hi:[0,1]
	v_bfi_b32 v44, 0xffff, v86, v102
	v_bfi_b32 v45, 0xffff, v45, v104
	v_add_f16_e32 v0, v36, v0
	v_pk_mul_f16 v106, 0x3b29b836, v76
	v_bfi_b32 v48, 0xffff, v52, v48
	v_bfi_b32 v66, 0xffff, v47, v121
	v_pk_add_f16 v56, v56, v68
	v_mul_f16_e32 v46, 0x3bf7, v46
	v_pk_fma_f16 v68, 0xb1e1b964, v74, v100
	v_pk_add_f16 v40, v40, v41
	v_pk_add_f16 v41, v43, v54 neg_lo:[0,1] neg_hi:[0,1]
	v_bfi_b32 v43, 0xffff, v51, v73
	v_bfi_b32 v51, 0xffff, v111, v117
	v_pk_add_f16 v3, v42, v3
	v_pk_add_f16 v42, v44, v45 neg_lo:[0,1] neg_hi:[0,1]
	v_add_f16_e32 v0, v37, v0
	v_pk_add_f16 v48, v48, v66
	v_pk_mul_f16 v66, 0x35c8b1e1, v1
	v_pk_add_f16 v56, v68, v56
	v_pk_fma_f16 v63, 0x3964b1e1, v76, v102
	v_pk_add_f16 v40, v40, v41
	v_pk_add_f16 v41, v43, v51 neg_lo:[0,1] neg_hi:[0,1]
	v_bfi_b32 v43, 0xffff, v49, v75
	v_bfi_b32 v44, 0xffff, v58, v106
	v_pk_add_f16 v3, v42, v3
	v_bfi_b32 v42, 0xffff, v88, v105
	v_bfi_b32 v45, 0xffff, v46, v108
	v_add_f16_e32 v0, v38, v0
	v_pk_add_f16 v56, v63, v56
	v_pk_fma_f16 v1, 0xbbb23b29, v1, v105
	v_pk_add_f16 v40, v41, v40
	v_pk_add_f16 v41, v43, v44 neg_lo:[0,1] neg_hi:[0,1]
	v_bfi_b32 v44, 0xffff, v47, v59
	v_bfi_b32 v46, 0xffff, v52, v66
	v_pk_add_f16 v42, v42, v45 neg_lo:[0,1] neg_hi:[0,1]
	v_sub_f16_e32 v110, v75, v106
	v_add_f16_e32 v0, v39, v0
	v_pk_add_f16 v45, v48, v50
	v_pk_add_f16 v43, v1, v56
	;; [unrolled: 1-line block ×3, first 2 shown]
	v_pk_add_f16 v44, v44, v46 neg_lo:[0,1] neg_hi:[0,1]
	v_pk_add_f16 v46, v42, v3
	v_add_f16_e32 v94, v110, v94
	v_sub_f16_e32 v70, v59, v66
	v_mad_u32_u24 v68, v7, 34, 0
	v_alignbit_b32 v42, v92, v45, 16
	v_alignbit_b32 v41, v45, v53, 16
	v_pack_b32_f16 v40, v0, v53
	v_pk_add_f16 v3, v44, v1
	v_alignbit_b32 v1, v90, v46, 16
	v_pack_b32_f16 v0, v87, v46
	v_add_f16_e32 v44, v70, v94
	ds_store_b128 v68, v[40:43]
	ds_store_b128 v68, v[0:3] offset:16
	ds_store_b16 v68, v44 offset:32
.LBB0_13:
	s_wait_alu 0xfffe
	s_or_b32 exec_lo, exec_lo, s1
	v_sub_f16_e32 v57, v30, v39
	v_add_f16_e32 v51, v24, v6
	v_sub_f16_e32 v55, v31, v38
	v_add_f16_e32 v50, v23, v8
	v_sub_f16_e32 v58, v5, v37
	v_pk_mul_f16 v43, 0xbbf7bbb2, v57 op_sel_hi:[1,0]
	v_add_f16_e32 v48, v22, v11
	v_pk_mul_f16 v42, 0xb1e13836, v55 op_sel_hi:[1,0]
	v_sub_f16_e32 v56, v28, v36
	v_pk_mul_f16 v41, 0x3bb23964, v58 op_sel_hi:[1,0]
	v_pk_fma_f16 v0, 0x2de8b461, v51, v43 op_sel_hi:[1,0,1]
	v_add_f16_e32 v52, v21, v12
	v_pk_fma_f16 v1, 0xbbddbacd, v50, v42 op_sel_hi:[1,0,1]
	v_pk_mul_f16 v40, 0x35c8bb29, v56 op_sel_hi:[1,0]
	v_pk_fma_f16 v3, 0xb46139e9, v48, v41 op_sel_hi:[1,0,1]
	v_pk_add_f16 v0, v4, v0 op_sel_hi:[0,1]
	v_sub_f16_e32 v54, v29, v35
	v_add_f16_e32 v53, v20, v15
	v_pk_fma_f16 v5, 0x3b763722, v52, v40 op_sel_hi:[1,0,1]
	v_sub_f16_e32 v49, v27, v34
	v_pk_add_f16 v0, v0, v1
	v_sub_f16_e32 v46, v25, v33
	v_pk_mul_f16 v39, 0xbb29b1e1, v54 op_sel_hi:[1,0]
	v_sub_f16_e32 v1, v26, v32
	global_wb scope:SCOPE_SE
	s_wait_dscnt 0x0
	v_pk_add_f16 v0, v0, v3
	s_barrier_signal -1
	s_barrier_wait -1
	global_inv scope:SCOPE_SE
	v_add_f16_e32 v47, v19, v13
	v_pk_add_f16 v5, v0, v5
	v_lshl_add_u32 v0, v7, 1, 0
	v_pk_mul_f16 v44, 0xb8363bf7, v49 op_sel_hi:[1,0]
	v_pk_fma_f16 v3, 0x3722bbdd, v53, v39 op_sel_hi:[1,0,1]
	v_add_f16_e32 v45, v18, v14
	ds_load_u16 v25, v0 offset:1666
	ds_load_u16 v36, v0
	ds_load_u16 v31, v0 offset:238
	ds_load_u16 v32, v0 offset:476
	;; [unrolled: 1-line block ×10, first 2 shown]
	v_pk_mul_f16 v38, 0x3a62b5c8, v46 op_sel_hi:[1,0]
	v_pk_fma_f16 v37, 0xbacd2de8, v47, v44 op_sel_hi:[1,0,1]
	v_pk_add_f16 v5, v5, v3
	v_add_f16_e32 v3, v17, v16
	global_wb scope:SCOPE_SE
	s_wait_dscnt 0x0
	v_pk_fma_f16 v59, 0xb8d23b76, v45, v38 op_sel_hi:[1,0,1]
	s_barrier_signal -1
	v_pk_add_f16 v5, v37, v5
	v_pk_mul_f16 v37, 0x3964ba62, v1 op_sel_hi:[1,0]
	s_barrier_wait -1
	global_inv scope:SCOPE_SE
	v_pk_add_f16 v5, v59, v5
	v_pk_fma_f16 v59, 0x39e9b8d2, v3, v37 op_sel_hi:[1,0,1]
	s_delay_alu instid0(VALU_DEP_1)
	v_pk_add_f16 v5, v59, v5
	s_and_saveexec_b32 s1, s0
	s_cbranch_execz .LBB0_15
; %bb.14:
	v_add_f16_e32 v24, v4, v24
	v_pack_b32_f16 v59, v51, v51
	v_pk_mul_f16 v72, 0x2de8b461, v51 op_sel_hi:[1,0]
	v_mul_f16_e32 v78, 0x3722, v51
	v_mul_f16_e32 v80, 0xbbdd, v51
	v_add_f16_e32 v23, v24, v23
	v_pack_b32_f16 v60, v57, v57
	v_pack_b32_f16 v62, v50, v50
	v_pk_mul_f16 v73, 0xbbddbacd, v50 op_sel_hi:[1,0]
	v_mul_f16_e32 v79, 0xbb29, v57
	v_add_f16_e32 v22, v23, v22
	v_mul_f16_e32 v82, 0x3b76, v50
	v_pack_b32_f16 v24, v55, v55
	v_pack_b32_f16 v63, v48, v48
	;; [unrolled: 1-line block ×3, first 2 shown]
	v_add_f16_e32 v21, v22, v21
	v_pk_mul_f16 v74, 0xb46139e9, v48 op_sel_hi:[1,0]
	v_mul_f16_e32 v81, 0xba62, v55
	v_mul_f16_e32 v84, 0xbacd, v48
	;; [unrolled: 1-line block ×3, first 2 shown]
	v_add_f16_e32 v20, v21, v20
	v_mul_f16_e32 v56, 0x3964, v56
	v_pack_b32_f16 v64, v58, v58
	v_pack_b32_f16 v65, v52, v52
	v_mul_f16_e32 v83, 0x31e1, v58
	v_add_f16_e32 v19, v20, v19
	v_pk_mul_f16 v20, 0x3b763722, v52 op_sel_hi:[1,0]
	v_pack_b32_f16 v66, v53, v53
	v_pk_mul_f16 v75, 0x3722bbdd, v53 op_sel_hi:[1,0]
	v_perm_b32 v61, v4, v4, 0x5040100
	v_add_f16_e32 v18, v19, v18
	v_pack_b32_f16 v67, v54, v54
	v_mul_f16_e32 v86, 0x3964, v54
	v_pk_mul_f16 v87, 0xbbf7b964, v24
	v_pk_mul_f16 v91, 0xb8d23722, v63
	v_add_f16_e32 v17, v18, v17
	v_mul_f16_e32 v18, 0xb1e1, v57
	v_mul_f16_e32 v57, 0xb8d2, v50
	v_pk_fma_f16 v90, 0x2de839e9, v62, v87 neg_lo:[0,0,1] neg_hi:[0,0,1]
	v_pk_mul_f16 v92, 0xba62bb29, v64
	v_add_f16_e32 v16, v17, v16
	v_mul_f16_e32 v17, 0x35c8, v55
	v_fma_f16 v51, v51, 0xbbdd, -v18
	v_mul_f16_e32 v55, 0xbbdd, v48
	v_pack_b32_f16 v22, v49, v49
	v_add_f16_e32 v14, v16, v14
	v_mul_f16_e32 v16, 0xb836, v58
	v_fma_f16 v50, v50, 0x3b76, -v17
	v_add_f16_e32 v51, v4, v51
	v_mul_f16_e32 v58, 0xb461, v52
	v_add_f16_e32 v13, v14, v13
	v_fma_f16 v48, v48, 0xbacd, -v16
	v_mul_f16_e32 v14, 0x39e9, v52
	v_add_f16_e32 v50, v51, v50
	v_mul_f16_e32 v51, 0xba62, v54
	v_add_f16_e32 v13, v13, v15
	v_fma_f16 v52, v52, 0x39e9, -v56
	v_mul_f16_e32 v15, 0x39e9, v53
	v_add_f16_e32 v48, v50, v48
	v_fma_f16 v50, v53, 0xb8d2, -v51
	v_add_f16_e32 v12, v12, v13
	v_mul_f16_e32 v13, 0xb8d2, v53
	v_pk_mul_f16 v53, 0x39e93b76, v59
	v_add_f16_e32 v48, v48, v52
	v_pk_mul_f16 v54, 0x2de839e9, v62
	v_add_f16_e32 v11, v11, v12
	v_mul_f16_e32 v52, 0xb5c8, v49
	v_mul_f16_e32 v49, 0x3b29, v49
	v_add_f16_e32 v48, v48, v50
	v_add_f16_e32 v89, v54, v87
	;; [unrolled: 1-line block ×3, first 2 shown]
	v_pk_mul_f16 v11, 0xb964b5c8, v60
	v_pk_mul_f16 v93, 0xbbdd2de8, v65
	;; [unrolled: 1-line block ×3, first 2 shown]
	v_pack_b32_f16 v68, v47, v47
	v_add_f16_e32 v8, v6, v8
	v_add_f16_e32 v6, v53, v11
	v_pk_fma_f16 v50, 0x39e93b76, v59, v11 neg_lo:[0,0,1] neg_hi:[0,0,1]
	v_pack_b32_f16 v70, v46, v46
	v_pk_mul_f16 v76, 0xbacd2de8, v47 op_sel_hi:[1,0]
	v_mul_f16_e32 v12, 0x3b76, v47
	v_add_f16_e32 v6, v4, v6
	v_pk_add_f16 v50, v61, v50
	v_mul_f16_e32 v88, 0x3722, v47
	v_fma_f16 v47, v47, 0x3722, -v49
	v_mul_f16_e32 v95, 0xbbf7, v46
	v_add_f16_e32 v6, v6, v89
	v_pk_add_f16 v50, v50, v90
	v_add_f16_e32 v89, v91, v92
	v_pk_fma_f16 v90, 0xb8d23722, v63, v92 neg_lo:[0,0,1] neg_hi:[0,0,1]
	v_mul_f16_e32 v46, 0xbbb2, v46
	v_pk_mul_f16 v96, 0xbacdb461, v66
	v_pk_mul_f16 v97, 0x3836bbb2, v67
	v_add_f16_e32 v6, v6, v89
	v_pk_add_f16 v50, v50, v90
	v_add_f16_e32 v89, v93, v94
	v_pk_fma_f16 v90, 0xbbdd2de8, v65, v94 neg_lo:[0,0,1] neg_hi:[0,0,1]
	v_bfi_b32 v53, 0xffff, v78, v53
	v_bfi_b32 v11, 0xffff, v79, v11
	v_pack_b32_f16 v69, v45, v45
	v_pk_mul_f16 v77, 0xb8d23b76, v45 op_sel_hi:[1,0]
	v_add_f16_e32 v47, v47, v48
	v_mul_f16_e32 v48, 0x2de8, v45
	v_mul_f16_e32 v98, 0xb461, v45
	v_fma_f16 v45, v45, 0xb461, -v46
	v_add_f16_e32 v6, v6, v89
	v_pk_add_f16 v50, v50, v90
	v_add_f16_e32 v89, v96, v97
	v_pk_fma_f16 v90, 0xbacdb461, v66, v97 neg_lo:[0,0,1] neg_hi:[0,0,1]
	v_pk_mul_f16 v99, 0xb461b8d2, v68
	v_pk_mul_f16 v100, 0x3bb2ba62, v22
	v_pk_add_f16 v11, v53, v11
	v_bfi_b32 v53, 0xffff, v57, v54
	v_bfi_b32 v54, 0xffff, v81, v87
	v_add_f16_e32 v45, v45, v47
	v_add_f16_e32 v6, v6, v89
	v_pk_add_f16 v47, v50, v90
	v_add_f16_e32 v50, v99, v100
	v_pk_fma_f16 v87, 0xb461b8d2, v68, v100 neg_lo:[0,0,1] neg_hi:[0,0,1]
	v_pk_mul_f16 v89, 0x3722bacd, v69
	v_pk_mul_f16 v90, 0x3b29b836, v70
	v_pk_add_f16 v11, v61, v11
	v_pk_add_f16 v53, v53, v54
	v_bfi_b32 v54, 0xffff, v55, v91
	v_bfi_b32 v91, 0xffff, v83, v92
	v_pack_b32_f16 v21, v1, v1
	v_add_f16_e32 v6, v50, v6
	v_pk_add_f16 v47, v87, v47
	v_add_f16_e32 v50, v89, v90
	v_pk_add_f16 v11, v11, v53
	v_pk_add_f16 v53, v54, v91
	v_bfi_b32 v54, 0xffff, v58, v93
	v_bfi_b32 v87, 0xffff, v85, v94
	v_pack_b32_f16 v71, v3, v3
	v_add_f16_e32 v50, v50, v6
	v_pk_fma_f16 v6, 0x3722bacd, v69, v90 neg_lo:[0,0,1] neg_hi:[0,0,1]
	v_pk_mul_f16 v91, 0x35c8b1e1, v21
	v_pk_add_f16 v11, v11, v53
	v_pk_add_f16 v53, v54, v87
	v_bfi_b32 v54, 0xffff, v15, v96
	v_bfi_b32 v87, 0xffff, v86, v97
	v_pk_add_f16 v6, v6, v47
	v_pk_fma_f16 v92, 0x3b76bbdd, v71, v91 neg_lo:[0,0,1] neg_hi:[0,0,1]
	v_pk_add_f16 v11, v11, v53
	v_bfi_b32 v78, 0xffff, v78, v72
	v_pk_add_f16 v53, v54, v87
	v_bfi_b32 v54, 0xffff, v12, v99
	v_bfi_b32 v87, 0xffff, v52, v100
	v_pk_add_f16 v92, v92, v6
	v_bfi_b32 v79, 0xffff, v79, v43
	v_pk_add_f16 v6, v11, v53
	;; [unrolled: 2-line block ×3, first 2 shown]
	v_bfi_b32 v54, 0xffff, v95, v90
	v_sub_f16_e32 v43, v72, v43
	v_bfi_b32 v15, 0xffff, v15, v75
	v_bfi_b32 v12, 0xffff, v12, v76
	v_pk_add_f16 v6, v11, v6
	v_pk_add_f16 v11, v53, v54
	v_pk_add_f16 v53, v78, v79 neg_lo:[0,1] neg_hi:[0,1]
	v_bfi_b32 v54, 0xffff, v57, v73
	v_bfi_b32 v57, 0xffff, v81, v42
	v_sub_f16_e32 v42, v73, v42
	v_pk_add_f16 v6, v11, v6
	v_add_f16_e32 v11, v4, v43
	v_pk_add_f16 v43, v61, v53
	v_pk_add_f16 v53, v54, v57 neg_lo:[0,1] neg_hi:[0,1]
	v_bfi_b32 v54, 0xffff, v55, v74
	v_bfi_b32 v55, 0xffff, v83, v41
	v_add_f16_e32 v11, v11, v42
	v_sub_f16_e32 v41, v74, v41
	v_pk_add_f16 v42, v43, v53
	v_bfi_b32 v53, 0xffff, v58, v20
	v_pk_add_f16 v43, v54, v55 neg_lo:[0,1] neg_hi:[0,1]
	v_bfi_b32 v54, 0xffff, v85, v40
	v_add_f16_e32 v11, v11, v41
	v_sub_f16_e32 v20, v20, v40
	v_pk_mul_f16 v24, 0x3b293bb2, v24
	v_pk_add_f16 v40, v42, v43
	v_pk_add_f16 v41, v53, v54 neg_lo:[0,1] neg_hi:[0,1]
	v_bfi_b32 v42, 0xffff, v86, v39
	v_add_f16_e32 v11, v11, v20
	v_sub_f16_e32 v20, v75, v39
	v_pk_mul_f16 v47, 0x3b76bbdd, v71
	v_pk_add_f16 v39, v40, v41
	;; [unrolled: 6-line block ×3, first 2 shown]
	v_pk_add_f16 v12, v12, v40 neg_lo:[0,1] neg_hi:[0,1]
	v_bfi_b32 v39, 0xffff, v48, v77
	v_bfi_b32 v40, 0xffff, v95, v38
	v_pk_mul_f16 v42, 0xb836ba62, v60
	v_add_f16_e32 v11, v20, v11
	v_sub_f16_e32 v20, v77, v38
	v_pk_add_f16 v12, v12, v15
	v_pk_add_f16 v15, v39, v40 neg_lo:[0,1] neg_hi:[0,1]
	v_add_f16_e32 v38, v41, v42
	v_pk_mul_f16 v39, 0x3722b461, v62
	v_add_f16_e32 v11, v20, v11
	v_mul_f16_e32 v94, 0xbacd, v3
	v_pk_add_f16 v12, v15, v12
	v_add_f16_e32 v4, v4, v38
	v_pk_fma_f16 v15, 0xbacdb8d2, v59, v42 neg_lo:[0,0,1] neg_hi:[0,0,1]
	v_add_f16_e32 v20, v39, v24
	v_mul_f16_e32 v87, 0xb836, v1
	v_pk_mul_f16 v40, 0xbbf7b5c8, v64
	v_bfi_b32 v41, 0xffff, v80, v41
	v_pk_add_f16 v15, v61, v15
	v_add_f16_e32 v4, v4, v20
	v_pk_fma_f16 v20, 0x3722b461, v62, v24 neg_lo:[0,0,1] neg_hi:[0,0,1]
	v_bfi_b32 v18, 0xffff, v18, v42
	v_add_f16_e32 v93, v47, v91
	v_bfi_b32 v47, 0xffff, v94, v47
	v_bfi_b32 v55, 0xffff, v87, v91
	v_pk_mul_f16 v38, 0x2de83b76, v63
	v_pk_mul_f16 v23, 0x3a62b836, v23
	v_pk_add_f16 v15, v15, v20
	v_pk_fma_f16 v20, 0x2de83b76, v63, v40 neg_lo:[0,0,1] neg_hi:[0,0,1]
	v_pk_add_f16 v18, v41, v18
	v_bfi_b32 v39, 0xffff, v82, v39
	v_bfi_b32 v17, 0xffff, v17, v24
	v_pk_add_f16 v43, v47, v55
	v_pk_mul_f16 v47, 0xb8d2bacd, v65
	v_pk_mul_f16 v53, 0xb5c83bf7, v67
	v_pk_add_f16 v15, v15, v20
	v_pk_fma_f16 v20, 0xb8d2bacd, v65, v23 neg_lo:[0,0,1] neg_hi:[0,0,1]
	v_pk_add_f16 v18, v61, v18
	v_pk_add_f16 v17, v39, v17
	v_bfi_b32 v24, 0xffff, v84, v38
	v_bfi_b32 v16, 0xffff, v16, v40
	v_add_f16_e32 v44, v38, v40
	v_pk_mul_f16 v52, 0x3b762de8, v66
	v_pk_add_f16 v15, v15, v20
	v_pk_fma_f16 v20, 0x3b762de8, v66, v53 neg_lo:[0,0,1] neg_hi:[0,0,1]
	v_pk_add_f16 v17, v18, v17
	v_pk_add_f16 v16, v24, v16
	v_bfi_b32 v14, 0xffff, v14, v47
	v_bfi_b32 v18, 0xffff, v56, v23
	v_add_f16_e32 v4, v4, v44
	v_add_f16_e32 v44, v47, v23
	v_pk_add_f16 v15, v15, v20
	v_pk_mul_f16 v20, 0xbbdd39e9, v68
	v_pk_mul_f16 v22, 0xb1e1b964, v22
	v_pk_add_f16 v16, v17, v16
	v_pk_add_f16 v14, v14, v18
	v_bfi_b32 v13, 0xffff, v13, v52
	v_bfi_b32 v17, 0xffff, v51, v53
	v_add_f16_e32 v4, v4, v44
	v_add_f16_e32 v44, v52, v53
	v_pk_mul_f16 v39, 0x39e9bbdd, v69
	v_pk_mul_f16 v40, 0x3964b1e1, v70
	v_pk_add_f16 v14, v16, v14
	v_pk_add_f16 v13, v13, v17
	v_bfi_b32 v16, 0xffff, v88, v20
	v_bfi_b32 v17, 0xffff, v49, v22
	v_pk_mul_f16 v19, 0x39e9b8d2, v3 op_sel_hi:[1,0]
	v_add_f16_e32 v4, v4, v44
	v_add_f16_e32 v38, v20, v22
	v_pk_fma_f16 v23, 0xbbdd39e9, v68, v22 neg_lo:[0,0,1] neg_hi:[0,0,1]
	v_pk_mul_f16 v20, 0xb4613722, v71
	v_pk_mul_f16 v21, 0xbbb23b29, v21
	v_pk_add_f16 v13, v14, v13
	v_pk_add_f16 v14, v16, v17
	v_bfi_b32 v16, 0xffff, v98, v39
	v_bfi_b32 v17, 0xffff, v46, v40
	v_mul_f16_e32 v22, 0x2de8, v3
	v_mul_f16_e32 v1, 0x3bf7, v1
	v_pk_add_f16 v6, v43, v6
	v_bfi_b32 v43, 0xffff, v94, v19
	v_bfi_b32 v48, 0xffff, v87, v37
	v_add_f16_e32 v4, v38, v4
	v_add_f16_e32 v24, v39, v40
	v_pk_add_f16 v13, v14, v13
	v_pk_add_f16 v14, v16, v17
	v_bfi_b32 v16, 0xffff, v22, v20
	v_bfi_b32 v17, 0xffff, v1, v21
	v_pk_add_f16 v43, v43, v48 neg_lo:[0,1] neg_hi:[0,1]
	v_sub_f16_e32 v18, v19, v37
	v_pk_add_f16 v15, v23, v15
	v_pk_fma_f16 v19, 0x39e9bbdd, v69, v40 neg_lo:[0,0,1] neg_hi:[0,0,1]
	v_add_f16_e32 v4, v24, v4
	v_add_f16_e32 v20, v20, v21
	v_fma_f16 v1, v3, 0x2de8, -v1
	v_pk_add_f16 v3, v14, v13
	v_pk_add_f16 v13, v16, v17
	;; [unrolled: 1-line block ×4, first 2 shown]
	v_pk_fma_f16 v19, 0xb4613722, v71, v21 neg_lo:[0,0,1] neg_hi:[0,0,1]
	v_add_f16_e32 v11, v18, v11
	v_add_f16_e32 v4, v20, v4
	;; [unrolled: 1-line block ×3, first 2 shown]
	v_pk_add_f16 v3, v13, v3
	v_pk_add_f16 v14, v19, v15
	v_lshl_add_u32 v15, v7, 5, v0
	v_alignbit_b32 v13, v11, v12, 16
	v_alignbit_b32 v12, v12, v92, 16
	v_pack_b32_f16 v11, v8, v92
	v_alignbit_b32 v4, v4, v3, 16
	v_pack_b32_f16 v3, v1, v3
	v_add_f16_e32 v1, v93, v50
	ds_store_b128 v15, v[11:14]
	ds_store_b128 v15, v[3:6] offset:16
	ds_store_b16 v15, v1 offset:32
.LBB0_15:
	s_wait_alu 0xfffe
	s_or_b32 exec_lo, exec_lo, s1
	v_and_b32_e32 v3, 0xff, v7
	v_add_nc_u32_e32 v1, 0x77, v7
	v_add_nc_u32_e32 v4, 0xee, v7
	;; [unrolled: 1-line block ×4, first 2 shown]
	v_mul_lo_u16 v11, 0xf1, v3
	v_add_nc_u32_e32 v3, 0x253, v7
	v_and_b32_e32 v13, 0xff, v1
	v_and_b32_e32 v14, 0xffff, v4
	;; [unrolled: 1-line block ×3, first 2 shown]
	v_lshrrev_b16 v12, 12, v11
	v_and_b32_e32 v18, 0xffff, v8
	v_and_b32_e32 v19, 0xffff, v3
	v_mul_lo_u16 v16, 0xf1, v13
	v_mul_u32_u24_e32 v13, 0xf0f1, v14
	v_mul_lo_u16 v17, v12, 17
	v_mul_u32_u24_e32 v15, 0xf0f1, v15
	global_wb scope:SCOPE_SE
	s_wait_dscnt 0x0
	s_barrier_signal -1
	v_lshrrev_b32_e32 v13, 20, v13
	v_sub_nc_u16 v14, v7, v17
	v_mul_u32_u24_e32 v17, 0xf0f1, v18
	v_mul_u32_u24_e32 v18, 0xf0f1, v19
	v_lshrrev_b16 v19, 12, v16
	v_lshrrev_b32_e32 v15, 20, v15
	v_mul_lo_u16 v22, v13, 17
	v_lshrrev_b32_e32 v17, 20, v17
	v_lshrrev_b32_e32 v18, 20, v18
	v_mul_lo_u16 v21, v19, 17
	v_mul_lo_u16 v23, v15, 17
	v_and_b32_e32 v14, 0xff, v14
	v_mul_lo_u16 v24, v17, 17
	v_mul_lo_u16 v37, v18, 17
	v_sub_nc_u16 v21, v1, v21
	v_sub_nc_u16 v4, v4, v22
	;; [unrolled: 1-line block ×5, first 2 shown]
	v_lshlrev_b32_e32 v20, 2, v14
	v_and_b32_e32 v21, 0xff, v21
	v_and_b32_e32 v4, 0xffff, v4
	;; [unrolled: 1-line block ×5, first 2 shown]
	s_barrier_wait -1
	global_inv scope:SCOPE_SE
	global_load_b32 v39, v20, s[4:5]
	v_lshlrev_b32_e32 v3, 2, v21
	v_lshlrev_b32_e32 v6, 2, v4
	;; [unrolled: 1-line block ×5, first 2 shown]
	s_clause 0x4
	global_load_b32 v42, v3, s[4:5]
	global_load_b32 v43, v6, s[4:5]
	;; [unrolled: 1-line block ×5, first 2 shown]
	ds_load_u16 v45, v0 offset:1666
	ds_load_u16 v3, v0
	ds_load_u16 v6, v0 offset:238
	ds_load_u16 v22, v0 offset:476
	;; [unrolled: 1-line block ×10, first 2 shown]
	v_and_b32_e32 v12, 0xffff, v12
	v_and_b32_e32 v19, 0xffff, v19
	v_lshlrev_b32_e32 v14, 1, v14
	v_mul_u32_u24_e32 v13, 0x44, v13
	v_lshlrev_b32_e32 v4, 1, v4
	v_mul_u32_u24_e32 v12, 0x44, v12
	v_mul_u32_u24_e32 v17, 0x44, v17
	v_lshlrev_b32_e32 v8, 1, v8
	v_mul_u32_u24_e32 v19, 0x44, v19
	v_mul_u32_u24_e32 v15, 0x44, v15
	v_add3_u32 v51, 0, v12, v14
	v_lshlrev_b32_e32 v12, 1, v21
	v_lshlrev_b32_e32 v14, 1, v23
	v_add3_u32 v56, 0, v13, v4
	v_add3_u32 v53, 0, v17, v8
	v_mul_u32_u24_e32 v18, 0x44, v18
	v_add3_u32 v55, 0, v19, v12
	v_add3_u32 v54, 0, v15, v14
	v_lshlrev_b32_e32 v20, 1, v52
	global_wb scope:SCOPE_SE
	s_wait_loadcnt_dscnt 0x0
	s_barrier_signal -1
	s_barrier_wait -1
	global_inv scope:SCOPE_SE
	v_add3_u32 v52, 0, v18, v20
	v_cmp_gt_u32_e64 s0, 0x55, v7
	v_lshrrev_b32_e32 v58, 16, v39
	v_lshrrev_b32_e32 v62, 16, v42
	;; [unrolled: 1-line block ×4, first 2 shown]
	s_delay_alu instid0(VALU_DEP_4)
	v_mul_f16_e32 v4, v46, v58
	v_lshrrev_b32_e32 v59, 16, v40
	v_lshrrev_b32_e32 v57, 16, v41
	v_mul_f16_e32 v8, v45, v62
	v_mul_f16_e32 v12, v49, v61
	;; [unrolled: 1-line block ×3, first 2 shown]
	v_fmac_f16_e32 v4, v30, v39
	v_mul_f16_e32 v14, v47, v59
	v_mul_f16_e32 v15, v48, v57
	v_fmac_f16_e32 v8, v25, v42
	v_fmac_f16_e32 v12, v29, v43
	;; [unrolled: 1-line block ×3, first 2 shown]
	v_sub_f16_e32 v17, v36, v4
	v_fmac_f16_e32 v14, v27, v40
	v_fmac_f16_e32 v15, v26, v41
	v_sub_f16_e32 v8, v31, v8
	v_sub_f16_e32 v19, v32, v12
	;; [unrolled: 1-line block ×3, first 2 shown]
	v_fma_f16 v18, v36, 2.0, -v17
	v_sub_f16_e32 v13, v34, v14
	v_sub_f16_e32 v12, v35, v15
	v_fma_f16 v20, v31, 2.0, -v8
	v_fma_f16 v21, v32, 2.0, -v19
	v_fma_f16 v23, v33, 2.0, -v4
	v_fma_f16 v15, v34, 2.0, -v13
	v_fma_f16 v14, v35, 2.0, -v12
	ds_store_b16 v51, v18
	ds_store_b16 v51, v17 offset:34
	ds_store_b16 v55, v20
	ds_store_b16 v55, v8 offset:34
	;; [unrolled: 2-line block ×6, first 2 shown]
	global_wb scope:SCOPE_SE
	s_wait_dscnt 0x0
	s_barrier_signal -1
	s_barrier_wait -1
	global_inv scope:SCOPE_SE
	ds_load_u16 v8, v0
	ds_load_u16 v23, v0 offset:408
	ds_load_u16 v21, v0 offset:816
	;; [unrolled: 1-line block ×6, first 2 shown]
	s_and_saveexec_b32 s1, s0
	s_cbranch_execz .LBB0_17
; %bb.16:
	ds_load_u16 v2, v0 offset:2278
	ds_load_u16 v4, v0 offset:238
	;; [unrolled: 1-line block ×6, first 2 shown]
	s_wait_dscnt 0x5
	ds_load_u16_d16_hi v2, v0 offset:2686
.LBB0_17:
	s_wait_alu 0xfffe
	s_or_b32 exec_lo, exec_lo, s1
	v_mul_f16_e32 v30, v30, v58
	v_mul_f16_e32 v25, v25, v62
	;; [unrolled: 1-line block ×5, first 2 shown]
	v_fma_f16 v30, v46, v39, -v30
	v_mul_f16_e32 v26, v26, v57
	v_fma_f16 v25, v45, v42, -v25
	v_fma_f16 v29, v49, v43, -v29
	;; [unrolled: 1-line block ×3, first 2 shown]
	v_sub_f16_e32 v30, v3, v30
	v_fma_f16 v27, v47, v40, -v27
	v_fma_f16 v31, v48, v41, -v26
	v_sub_f16_e32 v25, v6, v25
	v_sub_f16_e32 v32, v22, v29
	v_fma_f16 v33, v3, 2.0, -v30
	v_sub_f16_e32 v3, v24, v28
	v_sub_f16_e32 v26, v37, v27
	;; [unrolled: 1-line block ×3, first 2 shown]
	v_fma_f16 v6, v6, 2.0, -v25
	v_fma_f16 v22, v22, 2.0, -v32
	;; [unrolled: 1-line block ×5, first 2 shown]
	global_wb scope:SCOPE_SE
	s_wait_dscnt 0x0
	s_barrier_signal -1
	s_barrier_wait -1
	global_inv scope:SCOPE_SE
	ds_store_b16 v51, v33
	ds_store_b16 v51, v30 offset:34
	ds_store_b16 v55, v6
	ds_store_b16 v55, v25 offset:34
	;; [unrolled: 2-line block ×6, first 2 shown]
	global_wb scope:SCOPE_SE
	s_wait_dscnt 0x0
	s_barrier_signal -1
	s_barrier_wait -1
	global_inv scope:SCOPE_SE
	ds_load_u16 v6, v0
	ds_load_u16 v41, v0 offset:408
	ds_load_u16 v40, v0 offset:816
	;; [unrolled: 1-line block ×6, first 2 shown]
	s_and_saveexec_b32 s1, s0
	s_cbranch_execz .LBB0_19
; %bb.18:
	ds_load_u16 v5, v0 offset:2278
	ds_load_u16 v3, v0 offset:238
	;; [unrolled: 1-line block ×6, first 2 shown]
	s_wait_dscnt 0x5
	ds_load_u16_d16_hi v5, v0 offset:2686
.LBB0_19:
	s_wait_alu 0xfffe
	s_or_b32 exec_lo, exec_lo, s1
	v_lshrrev_b16 v11, 13, v11
	v_lshrrev_b16 v16, 13, v16
	v_lshrrev_b32_e32 v58, 16, v2
	s_wait_dscnt 0x0
	v_lshrrev_b32_e32 v59, 16, v5
	v_mul_lo_u16 v22, v11, 34
	v_mul_lo_u16 v24, v16, 34
	v_and_b32_e32 v11, 0xffff, v11
	s_delay_alu instid0(VALU_DEP_3) | instskip(NEXT) | instid1(VALU_DEP_3)
	v_sub_nc_u16 v22, v7, v22
	v_sub_nc_u16 v24, v1, v24
	s_delay_alu instid0(VALU_DEP_3) | instskip(NEXT) | instid1(VALU_DEP_3)
	v_mul_u32_u24_e32 v11, 0x1dc, v11
	v_and_b32_e32 v22, 0xff, v22
	s_delay_alu instid0(VALU_DEP_3) | instskip(NEXT) | instid1(VALU_DEP_2)
	v_and_b32_e32 v30, 0xff, v24
	v_mul_u32_u24_e32 v25, 6, v22
	s_delay_alu instid0(VALU_DEP_1) | instskip(NEXT) | instid1(VALU_DEP_3)
	v_lshlrev_b32_e32 v24, 2, v25
	v_mul_u32_u24_e32 v25, 6, v30
	global_load_b128 v[46:49], v24, s[4:5] offset:68
	v_lshlrev_b32_e32 v25, 2, v25
	s_clause 0x2
	global_load_b64 v[54:55], v24, s[4:5] offset:84
	global_load_b128 v[50:53], v25, s[4:5] offset:68
	global_load_b64 v[56:57], v25, s[4:5] offset:84
	v_lshlrev_b32_e32 v25, 1, v22
	v_lshlrev_b32_e32 v22, 1, v30
	v_and_b32_e32 v24, 0xffff, v16
	global_wb scope:SCOPE_SE
	s_wait_loadcnt 0x0
	s_barrier_signal -1
	v_add3_u32 v25, 0, v11, v25
	s_barrier_wait -1
	global_inv scope:SCOPE_SE
	v_lshrrev_b32_e32 v11, 16, v46
	v_lshrrev_b32_e32 v30, 16, v47
	;; [unrolled: 1-line block ×8, first 2 shown]
	v_mul_f16_e32 v16, v41, v11
	v_mul_f16_e32 v65, v23, v11
	;; [unrolled: 1-line block ×5, first 2 shown]
	v_lshrrev_b32_e32 v35, 16, v50
	v_lshrrev_b32_e32 v61, 16, v52
	;; [unrolled: 1-line block ×3, first 2 shown]
	v_mul_f16_e32 v66, v21, v30
	v_mul_f16_e32 v42, v39, v31
	;; [unrolled: 1-line block ×11, first 2 shown]
	v_fmac_f16_e32 v16, v23, v46
	v_fmac_f16_e32 v11, v21, v47
	v_fmac_f16_e32 v44, v18, v54
	v_fmac_f16_e32 v45, v17, v55
	v_mul_f16_e32 v31, v29, v35
	v_mul_f16_e32 v32, v28, v61
	;; [unrolled: 1-line block ×4, first 2 shown]
	v_fma_f16 v40, v40, v47, -v66
	v_fmac_f16_e32 v42, v20, v48
	v_fma_f16 v39, v39, v48, -v67
	v_fmac_f16_e32 v43, v19, v49
	v_fma_f16 v38, v38, v49, -v68
	v_fma_f16 v18, v37, v54, -v69
	;; [unrolled: 1-line block ×3, first 2 shown]
	v_fmac_f16_e32 v34, v2, v56
	v_fma_f16 v26, v5, v56, -v63
	v_add_f16_e32 v2, v16, v45
	v_add_f16_e32 v5, v11, v44
	v_fma_f16 v41, v41, v46, -v65
	v_fma_f16 v17, v36, v55, -v70
	v_mul_f16_e32 v71, v15, v35
	v_mul_f16_e32 v61, v14, v61
	v_fmac_f16_e32 v31, v15, v50
	v_fmac_f16_e32 v30, v13, v51
	;; [unrolled: 1-line block ×3, first 2 shown]
	v_fma_f16 v23, v27, v53, -v62
	v_add_f16_e32 v13, v42, v43
	v_sub_f16_e32 v14, v40, v18
	v_sub_f16_e32 v15, v38, v39
	v_add_f16_e32 v27, v5, v2
	v_fmac_f16_e32 v33, v12, v53
	v_sub_f16_e32 v12, v41, v17
	v_fma_f16 v20, v29, v50, -v71
	v_fma_f16 v19, v28, v52, -v61
	v_sub_f16_e32 v28, v5, v2
	v_sub_f16_e32 v2, v2, v13
	;; [unrolled: 1-line block ×3, first 2 shown]
	v_add_f16_e32 v29, v15, v14
	v_sub_f16_e32 v36, v15, v14
	v_add_f16_e32 v13, v13, v27
	v_sub_f16_e32 v14, v14, v12
	v_sub_f16_e32 v15, v12, v15
	v_add_f16_e32 v12, v29, v12
	v_mul_f16_e32 v2, 0x3a52, v2
	v_mul_f16_e32 v27, 0x2b26, v5
	;; [unrolled: 1-line block ×3, first 2 shown]
	v_add_f16_e32 v37, v8, v13
	v_mul_f16_e32 v36, 0xbb00, v14
	v_lshrrev_b32_e32 v64, 16, v57
	v_fmamk_f16 v5, v5, 0x2b26, v2
	v_fma_f16 v8, v28, 0x39e0, -v27
	v_fmamk_f16 v27, v15, 0xb574, v29
	v_fmamk_f16 v13, v13, 0xbcab, v37
	v_fma_f16 v15, v15, 0x3574, -v36
	v_fma_f16 v2, v28, 0xb9e0, -v2
	;; [unrolled: 1-line block ×3, first 2 shown]
	v_mul_f16_e32 v35, v59, v64
	v_mul_f16_e32 v64, v58, v64
	v_fmac_f16_e32 v27, 0xb70e, v12
	v_add_f16_e32 v5, v5, v13
	v_fmac_f16_e32 v15, 0xb70e, v12
	v_add_f16_e32 v2, v2, v13
	;; [unrolled: 2-line block ×3, first 2 shown]
	v_fmac_f16_e32 v35, v58, v57
	v_fma_f16 v8, v59, v57, -v64
	v_add_f16_e32 v13, v27, v5
	v_add_f16_e32 v28, v15, v2
	v_sub_f16_e32 v29, v12, v14
	v_add_f16_e32 v12, v14, v12
	v_sub_f16_e32 v2, v2, v15
	v_sub_f16_e32 v5, v5, v27
	ds_store_b16 v25, v37
	ds_store_b16 v25, v13 offset:68
	ds_store_b16 v25, v28 offset:136
	;; [unrolled: 1-line block ×6, first 2 shown]
	s_and_saveexec_b32 s1, s0
	s_cbranch_execz .LBB0_21
; %bb.20:
	v_add_f16_e32 v2, v31, v35
	v_add_f16_e32 v5, v30, v34
	;; [unrolled: 1-line block ×3, first 2 shown]
	v_sub_f16_e32 v14, v23, v19
	v_sub_f16_e32 v27, v21, v26
	;; [unrolled: 1-line block ×3, first 2 shown]
	v_add_f16_e32 v15, v5, v2
	v_sub_f16_e32 v28, v2, v12
	v_sub_f16_e32 v29, v12, v5
	;; [unrolled: 1-line block ×4, first 2 shown]
	v_add_f16_e32 v12, v12, v15
	v_sub_f16_e32 v15, v14, v27
	v_add_f16_e32 v14, v14, v27
	v_sub_f16_e32 v27, v27, v13
	v_mul_f16_e32 v5, 0x3a52, v28
	v_add_f16_e32 v4, v4, v12
	v_mul_f16_e32 v15, 0x3846, v15
	v_add_f16_e32 v13, v14, v13
	v_mul_f16_e32 v28, 0xbb00, v27
	v_fmamk_f16 v14, v29, 0x2b26, v5
	v_mul_f16_e32 v29, 0x2b26, v29
	v_fmamk_f16 v12, v12, 0xbcab, v4
	v_fmamk_f16 v37, v36, 0xb574, v15
	v_fma_f16 v5, v2, 0xb9e0, -v5
	v_fma_f16 v28, v36, 0x3574, -v28
	;; [unrolled: 1-line block ×4, first 2 shown]
	v_mul_u32_u24_e32 v27, 0x1dc, v24
	v_add_f16_e32 v14, v14, v12
	v_fmac_f16_e32 v37, 0xb70e, v13
	v_add_f16_e32 v5, v5, v12
	v_fmac_f16_e32 v28, 0xb70e, v13
	v_fmac_f16_e32 v15, 0xb70e, v13
	v_add_f16_e32 v2, v2, v12
	v_add3_u32 v13, 0, v27, v22
	v_sub_f16_e32 v29, v14, v37
	v_add_f16_e32 v14, v37, v14
	v_sub_f16_e32 v12, v5, v28
	v_add_f16_e32 v5, v28, v5
	;; [unrolled: 2-line block ×3, first 2 shown]
	ds_store_b16 v13, v4
	ds_store_b16 v13, v14 offset:68
	ds_store_b16 v13, v5 offset:136
	;; [unrolled: 1-line block ×6, first 2 shown]
.LBB0_21:
	s_wait_alu 0xfffe
	s_or_b32 exec_lo, exec_lo, s1
	v_add_f16_e32 v2, v41, v17
	v_add_f16_e32 v4, v40, v18
	v_sub_f16_e32 v5, v16, v45
	v_add_f16_e32 v12, v39, v38
	v_sub_f16_e32 v11, v11, v44
	v_sub_f16_e32 v13, v43, v42
	v_add_f16_e32 v14, v4, v2
	v_sub_f16_e32 v15, v4, v2
	v_sub_f16_e32 v2, v2, v12
	;; [unrolled: 1-line block ×3, first 2 shown]
	v_add_f16_e32 v16, v13, v11
	v_add_f16_e32 v12, v12, v14
	v_sub_f16_e32 v14, v13, v11
	v_sub_f16_e32 v11, v11, v5
	;; [unrolled: 1-line block ×3, first 2 shown]
	v_add_f16_e32 v5, v16, v5
	v_add_f16_e32 v27, v6, v12
	v_mul_f16_e32 v2, 0x3a52, v2
	v_mul_f16_e32 v6, 0x2b26, v4
	;; [unrolled: 1-line block ×4, first 2 shown]
	v_fmamk_f16 v12, v12, 0xbcab, v27
	v_fmamk_f16 v4, v4, 0x2b26, v2
	v_fma_f16 v6, v15, 0x39e0, -v6
	v_fma_f16 v2, v15, 0xb9e0, -v2
	v_fmamk_f16 v28, v13, 0xb574, v14
	v_fma_f16 v29, v11, 0xbb00, -v14
	v_fma_f16 v36, v13, 0x3574, -v16
	v_add_f16_e32 v37, v4, v12
	v_add_f16_e32 v38, v6, v12
	v_add_f16_e32 v39, v2, v12
	v_fmac_f16_e32 v28, 0xb70e, v5
	v_fmac_f16_e32 v29, 0xb70e, v5
	;; [unrolled: 1-line block ×3, first 2 shown]
	global_wb scope:SCOPE_SE
	s_wait_dscnt 0x0
	s_barrier_signal -1
	s_barrier_wait -1
	global_inv scope:SCOPE_SE
	ds_load_u16 v2, v0
	ds_load_u16 v5, v0 offset:1904
	ds_load_u16 v16, v0 offset:1666
	;; [unrolled: 1-line block ×11, first 2 shown]
	v_sub_f16_e32 v40, v37, v28
	v_sub_f16_e32 v41, v39, v36
	v_add_f16_e32 v42, v29, v38
	v_sub_f16_e32 v29, v38, v29
	v_add_f16_e32 v36, v36, v39
	v_add_f16_e32 v28, v28, v37
	global_wb scope:SCOPE_SE
	s_wait_dscnt 0x0
	s_barrier_signal -1
	s_barrier_wait -1
	global_inv scope:SCOPE_SE
	ds_store_b16 v25, v27
	ds_store_b16 v25, v40 offset:68
	ds_store_b16 v25, v41 offset:136
	;; [unrolled: 1-line block ×6, first 2 shown]
	s_and_saveexec_b32 s1, s0
	s_cbranch_execz .LBB0_23
; %bb.22:
	v_add_f16_e32 v8, v20, v8
	v_add_f16_e32 v20, v21, v26
	;; [unrolled: 1-line block ×3, first 2 shown]
	v_sub_f16_e32 v23, v30, v34
	v_sub_f16_e32 v25, v33, v32
	;; [unrolled: 1-line block ×3, first 2 shown]
	v_add_f16_e32 v26, v20, v8
	v_sub_f16_e32 v27, v20, v8
	v_sub_f16_e32 v8, v8, v19
	v_sub_f16_e32 v20, v19, v20
	v_add_f16_e32 v28, v25, v23
	v_add_f16_e32 v19, v19, v26
	v_sub_f16_e32 v26, v25, v23
	v_sub_f16_e32 v23, v23, v21
	;; [unrolled: 1-line block ×3, first 2 shown]
	v_add_f16_e32 v21, v28, v21
	v_add_f16_e32 v3, v3, v19
	v_mul_f16_e32 v8, 0x3a52, v8
	v_mul_f16_e32 v28, 0x2b26, v20
	;; [unrolled: 1-line block ×4, first 2 shown]
	v_fmamk_f16 v19, v19, 0xbcab, v3
	v_fmamk_f16 v20, v20, 0x2b26, v8
	v_fma_f16 v28, v27, 0x39e0, -v28
	v_fma_f16 v8, v27, 0xb9e0, -v8
	v_fmamk_f16 v27, v25, 0xb574, v26
	v_fma_f16 v25, v25, 0x3574, -v29
	v_fma_f16 v23, v23, 0xbb00, -v26
	v_add_f16_e32 v20, v20, v19
	v_add_f16_e32 v26, v28, v19
	;; [unrolled: 1-line block ×3, first 2 shown]
	v_mul_u32_u24_e32 v19, 0x1dc, v24
	v_fmac_f16_e32 v27, 0xb70e, v21
	v_fmac_f16_e32 v25, 0xb70e, v21
	;; [unrolled: 1-line block ×3, first 2 shown]
	s_delay_alu instid0(VALU_DEP_4) | instskip(NEXT) | instid1(VALU_DEP_4)
	v_add3_u32 v19, 0, v19, v22
	v_sub_f16_e32 v21, v20, v27
	s_delay_alu instid0(VALU_DEP_4) | instskip(NEXT) | instid1(VALU_DEP_4)
	v_sub_f16_e32 v24, v8, v25
	v_add_f16_e32 v22, v23, v26
	v_sub_f16_e32 v23, v26, v23
	v_add_f16_e32 v8, v25, v8
	v_add_f16_e32 v20, v27, v20
	ds_store_b16 v19, v3
	ds_store_b16 v19, v21 offset:68
	ds_store_b16 v19, v24 offset:136
	;; [unrolled: 1-line block ×6, first 2 shown]
.LBB0_23:
	s_wait_alu 0xfffe
	s_or_b32 exec_lo, exec_lo, s1
	global_wb scope:SCOPE_SE
	s_wait_dscnt 0x0
	s_barrier_signal -1
	s_barrier_wait -1
	global_inv scope:SCOPE_SE
	s_and_saveexec_b32 s0, vcc_lo
	s_cbranch_execz .LBB0_25
; %bb.24:
	v_mul_u32_u24_e32 v3, 5, v1
	v_mul_u32_u24_e32 v8, 5, v7
	v_mul_hi_u32 v1, 0x44d72045, v1
	s_delay_alu instid0(VALU_DEP_3) | instskip(NEXT) | instid1(VALU_DEP_3)
	v_lshlrev_b32_e32 v3, 2, v3
	v_lshlrev_b32_e32 v8, 2, v8
	s_delay_alu instid0(VALU_DEP_3)
	v_lshrrev_b32_e32 v1, 6, v1
	s_clause 0x3
	global_load_b128 v[19:22], v3, s[4:5] offset:884
	global_load_b32 v3, v3, s[4:5] offset:900
	global_load_b128 v[23:26], v8, s[4:5] offset:884
	global_load_b32 v29, v8, s[4:5] offset:900
	v_mov_b32_e32 v8, 0
	ds_load_u16 v30, v0 offset:1666
	ds_load_u16 v31, v0 offset:1428
	;; [unrolled: 1-line block ×7, first 2 shown]
	ds_load_u16 v37, v0
	ds_load_u16 v38, v0 offset:2618
	ds_load_u16 v39, v0 offset:2380
	v_lshlrev_b64_e32 v[27:28], 2, v[7:8]
	v_mul_u32_u24_e32 v7, 0x4a6, v1
	v_add_co_u32 v1, vcc_lo, s8, v9
	s_wait_alu 0xfffd
	v_add_co_ci_u32_e32 v10, vcc_lo, s9, v10, vcc_lo
	s_delay_alu instid0(VALU_DEP_3) | instskip(NEXT) | instid1(VALU_DEP_3)
	v_lshlrev_b64_e32 v[7:8], 2, v[7:8]
	v_add_co_u32 v9, vcc_lo, v1, v27
	s_wait_alu 0xfffd
	s_delay_alu instid0(VALU_DEP_3)
	v_add_co_ci_u32_e32 v10, vcc_lo, v10, v28, vcc_lo
	ds_load_u16 v27, v0 offset:2142
	ds_load_u16 v28, v0 offset:1904
	v_add_co_u32 v0, vcc_lo, v9, v7
	s_wait_alu 0xfffd
	v_add_co_ci_u32_e32 v1, vcc_lo, v10, v8, vcc_lo
	s_wait_loadcnt 0x2
	v_lshrrev_b32_e32 v44, 16, v3
	v_lshrrev_b32_e32 v7, 16, v19
	;; [unrolled: 1-line block ×5, first 2 shown]
	v_mul_f16_e32 v42, v17, v19
	v_mul_f16_e32 v43, v16, v21
	;; [unrolled: 1-line block ×3, first 2 shown]
	s_wait_loadcnt 0x1
	v_lshrrev_b32_e32 v47, 16, v24
	v_lshrrev_b32_e32 v48, 16, v25
	s_wait_loadcnt 0x0
	v_lshrrev_b32_e32 v52, 16, v29
	v_lshrrev_b32_e32 v46, 16, v23
	;; [unrolled: 1-line block ×3, first 2 shown]
	v_mul_f16_e32 v51, v12, v25
	v_mul_f16_e32 v53, v15, v29
	;; [unrolled: 1-line block ×4, first 2 shown]
	s_wait_dscnt 0x9
	v_mul_f16_e32 v8, v32, v8
	s_wait_dscnt 0x1
	v_mul_f16_e32 v41, v27, v41
	v_fmac_f16_e32 v42, v34, v7
	v_fmac_f16_e32 v43, v30, v40
	;; [unrolled: 1-line block ×3, first 2 shown]
	v_mul_f16_e32 v16, v16, v40
	v_mul_f16_e32 v18, v18, v44
	;; [unrolled: 1-line block ×9, first 2 shown]
	s_wait_dscnt 0x0
	v_mul_f16_e32 v47, v28, v49
	v_mul_f16_e32 v13, v13, v46
	v_fma_f16 v32, v32, v20, -v54
	v_fma_f16 v27, v27, v22, -v55
	v_fmac_f16_e32 v8, v11, v20
	v_fmac_f16_e32 v41, v14, v22
	v_add_f16_e32 v11, v43, v45
	v_fma_f16 v14, v30, v21, -v16
	v_fma_f16 v3, v38, v3, -v18
	;; [unrolled: 1-line block ×3, first 2 shown]
	v_fmac_f16_e32 v44, v6, v24
	v_fma_f16 v6, v31, v25, -v12
	v_fma_f16 v12, v39, v29, -v15
	v_fmac_f16_e32 v50, v35, v46
	v_fmac_f16_e32 v51, v31, v48
	;; [unrolled: 1-line block ×3, first 2 shown]
	v_fma_f16 v17, v33, v24, -v17
	v_fma_f16 v19, v28, v26, -v40
	v_fmac_f16_e32 v47, v5, v26
	v_fma_f16 v13, v35, v23, -v13
	v_add_f16_e32 v21, v32, v27
	v_fma_f16 v11, -0.5, v11, v42
	v_sub_f16_e32 v23, v14, v3
	v_add_f16_e32 v24, v14, v3
	v_add_f16_e32 v25, v36, v32
	;; [unrolled: 1-line block ×3, first 2 shown]
	v_sub_f16_e32 v28, v32, v27
	v_add_f16_e32 v32, v6, v12
	v_sub_f16_e32 v16, v43, v45
	v_add_f16_e32 v18, v42, v43
	v_add_f16_e32 v5, v51, v53
	v_sub_f16_e32 v15, v51, v53
	v_add_f16_e32 v20, v50, v51
	v_sub_f16_e32 v22, v8, v41
	v_add_f16_e32 v26, v8, v41
	v_add_f16_e32 v8, v4, v8
	;; [unrolled: 1-line block ×3, first 2 shown]
	v_sub_f16_e32 v31, v6, v12
	v_add_f16_e32 v33, v37, v17
	v_add_f16_e32 v6, v13, v6
	;; [unrolled: 1-line block ×4, first 2 shown]
	v_fma_f16 v21, -0.5, v21, v36
	v_fmamk_f16 v36, v23, 0x3aee, v11
	v_fma_f16 v7, -0.5, v24, v7
	v_fmac_f16_e32 v11, 0xbaee, v23
	v_add_f16_e32 v23, v25, v27
	v_add_f16_e32 v3, v14, v3
	v_fma_f16 v13, -0.5, v32, v13
	v_add_f16_e32 v18, v18, v45
	v_sub_f16_e32 v30, v44, v47
	v_fma_f16 v5, -0.5, v5, v50
	v_sub_f16_e32 v17, v17, v19
	v_add_f16_e32 v20, v20, v53
	v_fma_f16 v4, -0.5, v26, v4
	v_add_f16_e32 v8, v8, v41
	v_fma_f16 v14, -0.5, v29, v37
	v_add_f16_e32 v19, v33, v19
	v_add_f16_e32 v6, v6, v12
	v_fma_f16 v2, -0.5, v34, v2
	v_add_f16_e32 v12, v35, v47
	v_fmamk_f16 v26, v16, 0xbaee, v7
	v_fmac_f16_e32 v7, 0x3aee, v16
	v_sub_f16_e32 v16, v23, v3
	v_add_f16_e32 v3, v23, v3
	v_fmamk_f16 v23, v15, 0xbaee, v13
	v_fmac_f16_e32 v13, 0x3aee, v15
	v_fmamk_f16 v24, v31, 0x3aee, v5
	v_fmac_f16_e32 v5, 0xbaee, v31
	;; [unrolled: 2-line block ×4, first 2 shown]
	v_sub_f16_e32 v27, v8, v18
	v_add_f16_e32 v8, v8, v18
	v_fmamk_f16 v18, v30, 0xbaee, v14
	v_fmac_f16_e32 v14, 0x3aee, v30
	v_sub_f16_e32 v15, v19, v6
	v_fmamk_f16 v28, v17, 0x3aee, v2
	v_fmac_f16_e32 v2, 0xbaee, v17
	v_sub_f16_e32 v17, v12, v20
	v_add_f16_e32 v6, v19, v6
	v_add_f16_e32 v12, v12, v20
	v_mul_f16_e32 v19, -0.5, v26
	v_mul_f16_e32 v20, 0.5, v7
	v_mul_f16_e32 v26, 0xbaee, v26
	v_mul_f16_e32 v30, 0.5, v13
	v_mul_f16_e32 v13, 0xbaee, v13
	v_mul_f16_e32 v29, -0.5, v23
	v_mul_f16_e32 v23, 0xbaee, v23
	v_mul_f16_e32 v7, 0xbaee, v7
	v_fmac_f16_e32 v19, 0x3aee, v36
	v_fmac_f16_e32 v20, 0x3aee, v11
	v_fmac_f16_e32 v26, -0.5, v36
	v_fmac_f16_e32 v30, 0x3aee, v5
	v_fmac_f16_e32 v13, 0.5, v5
	v_fmac_f16_e32 v29, 0x3aee, v24
	v_fmac_f16_e32 v23, -0.5, v24
	v_fmac_f16_e32 v7, 0.5, v11
	v_pack_b32_f16 v6, v12, v6
	v_pack_b32_f16 v12, v17, v15
	v_sub_f16_e32 v5, v25, v19
	v_sub_f16_e32 v11, v21, v20
	;; [unrolled: 1-line block ×3, first 2 shown]
	v_add_f16_e32 v17, v25, v19
	v_add_f16_e32 v19, v21, v20
	;; [unrolled: 1-line block ×3, first 2 shown]
	v_sub_f16_e32 v22, v14, v30
	v_add_f16_e32 v14, v14, v30
	v_add_f16_e32 v24, v2, v13
	v_sub_f16_e32 v21, v18, v29
	v_add_f16_e32 v18, v18, v29
	v_add_f16_e32 v25, v28, v23
	v_sub_f16_e32 v2, v2, v13
	v_pack_b32_f16 v3, v8, v3
	v_pack_b32_f16 v8, v27, v16
	v_sub_f16_e32 v16, v4, v7
	v_sub_f16_e32 v13, v28, v23
	v_add_f16_e32 v4, v4, v7
	v_pack_b32_f16 v7, v24, v14
	v_pack_b32_f16 v14, v25, v18
	;; [unrolled: 1-line block ×8, first 2 shown]
	s_clause 0xb
	global_store_b32 v[9:10], v6, off
	global_store_b32 v[9:10], v7, off offset:952
	global_store_b32 v[9:10], v14, off offset:1904
	;; [unrolled: 1-line block ×11, first 2 shown]
.LBB0_25:
	s_nop 0
	s_sendmsg sendmsg(MSG_DEALLOC_VGPRS)
	s_endpgm
	.section	.rodata,"a",@progbits
	.p2align	6, 0x0
	.amdhsa_kernel fft_rtc_back_len1428_factors_17_2_7_6_wgs_119_tpt_119_halfLds_half_ip_CI_unitstride_sbrr_dirReg
		.amdhsa_group_segment_fixed_size 0
		.amdhsa_private_segment_fixed_size 0
		.amdhsa_kernarg_size 88
		.amdhsa_user_sgpr_count 2
		.amdhsa_user_sgpr_dispatch_ptr 0
		.amdhsa_user_sgpr_queue_ptr 0
		.amdhsa_user_sgpr_kernarg_segment_ptr 1
		.amdhsa_user_sgpr_dispatch_id 0
		.amdhsa_user_sgpr_private_segment_size 0
		.amdhsa_wavefront_size32 1
		.amdhsa_uses_dynamic_stack 0
		.amdhsa_enable_private_segment 0
		.amdhsa_system_sgpr_workgroup_id_x 1
		.amdhsa_system_sgpr_workgroup_id_y 0
		.amdhsa_system_sgpr_workgroup_id_z 0
		.amdhsa_system_sgpr_workgroup_info 0
		.amdhsa_system_vgpr_workitem_id 0
		.amdhsa_next_free_vgpr 126
		.amdhsa_next_free_sgpr 32
		.amdhsa_reserve_vcc 1
		.amdhsa_float_round_mode_32 0
		.amdhsa_float_round_mode_16_64 0
		.amdhsa_float_denorm_mode_32 3
		.amdhsa_float_denorm_mode_16_64 3
		.amdhsa_fp16_overflow 0
		.amdhsa_workgroup_processor_mode 1
		.amdhsa_memory_ordered 1
		.amdhsa_forward_progress 0
		.amdhsa_round_robin_scheduling 0
		.amdhsa_exception_fp_ieee_invalid_op 0
		.amdhsa_exception_fp_denorm_src 0
		.amdhsa_exception_fp_ieee_div_zero 0
		.amdhsa_exception_fp_ieee_overflow 0
		.amdhsa_exception_fp_ieee_underflow 0
		.amdhsa_exception_fp_ieee_inexact 0
		.amdhsa_exception_int_div_zero 0
	.end_amdhsa_kernel
	.text
.Lfunc_end0:
	.size	fft_rtc_back_len1428_factors_17_2_7_6_wgs_119_tpt_119_halfLds_half_ip_CI_unitstride_sbrr_dirReg, .Lfunc_end0-fft_rtc_back_len1428_factors_17_2_7_6_wgs_119_tpt_119_halfLds_half_ip_CI_unitstride_sbrr_dirReg
                                        ; -- End function
	.section	.AMDGPU.csdata,"",@progbits
; Kernel info:
; codeLenInByte = 12632
; NumSgprs: 34
; NumVgprs: 126
; ScratchSize: 0
; MemoryBound: 0
; FloatMode: 240
; IeeeMode: 1
; LDSByteSize: 0 bytes/workgroup (compile time only)
; SGPRBlocks: 4
; VGPRBlocks: 15
; NumSGPRsForWavesPerEU: 34
; NumVGPRsForWavesPerEU: 126
; Occupancy: 10
; WaveLimiterHint : 1
; COMPUTE_PGM_RSRC2:SCRATCH_EN: 0
; COMPUTE_PGM_RSRC2:USER_SGPR: 2
; COMPUTE_PGM_RSRC2:TRAP_HANDLER: 0
; COMPUTE_PGM_RSRC2:TGID_X_EN: 1
; COMPUTE_PGM_RSRC2:TGID_Y_EN: 0
; COMPUTE_PGM_RSRC2:TGID_Z_EN: 0
; COMPUTE_PGM_RSRC2:TIDIG_COMP_CNT: 0
	.text
	.p2alignl 7, 3214868480
	.fill 96, 4, 3214868480
	.type	__hip_cuid_36e3c2ccefee596b,@object ; @__hip_cuid_36e3c2ccefee596b
	.section	.bss,"aw",@nobits
	.globl	__hip_cuid_36e3c2ccefee596b
__hip_cuid_36e3c2ccefee596b:
	.byte	0                               ; 0x0
	.size	__hip_cuid_36e3c2ccefee596b, 1

	.ident	"AMD clang version 19.0.0git (https://github.com/RadeonOpenCompute/llvm-project roc-6.4.0 25133 c7fe45cf4b819c5991fe208aaa96edf142730f1d)"
	.section	".note.GNU-stack","",@progbits
	.addrsig
	.addrsig_sym __hip_cuid_36e3c2ccefee596b
	.amdgpu_metadata
---
amdhsa.kernels:
  - .args:
      - .actual_access:  read_only
        .address_space:  global
        .offset:         0
        .size:           8
        .value_kind:     global_buffer
      - .offset:         8
        .size:           8
        .value_kind:     by_value
      - .actual_access:  read_only
        .address_space:  global
        .offset:         16
        .size:           8
        .value_kind:     global_buffer
      - .actual_access:  read_only
        .address_space:  global
        .offset:         24
        .size:           8
        .value_kind:     global_buffer
      - .offset:         32
        .size:           8
        .value_kind:     by_value
      - .actual_access:  read_only
        .address_space:  global
        .offset:         40
        .size:           8
        .value_kind:     global_buffer
      - .actual_access:  read_only
        .address_space:  global
        .offset:         48
        .size:           8
        .value_kind:     global_buffer
      - .offset:         56
        .size:           4
        .value_kind:     by_value
      - .actual_access:  read_only
        .address_space:  global
        .offset:         64
        .size:           8
        .value_kind:     global_buffer
      - .actual_access:  read_only
        .address_space:  global
        .offset:         72
        .size:           8
        .value_kind:     global_buffer
      - .address_space:  global
        .offset:         80
        .size:           8
        .value_kind:     global_buffer
    .group_segment_fixed_size: 0
    .kernarg_segment_align: 8
    .kernarg_segment_size: 88
    .language:       OpenCL C
    .language_version:
      - 2
      - 0
    .max_flat_workgroup_size: 119
    .name:           fft_rtc_back_len1428_factors_17_2_7_6_wgs_119_tpt_119_halfLds_half_ip_CI_unitstride_sbrr_dirReg
    .private_segment_fixed_size: 0
    .sgpr_count:     34
    .sgpr_spill_count: 0
    .symbol:         fft_rtc_back_len1428_factors_17_2_7_6_wgs_119_tpt_119_halfLds_half_ip_CI_unitstride_sbrr_dirReg.kd
    .uniform_work_group_size: 1
    .uses_dynamic_stack: false
    .vgpr_count:     126
    .vgpr_spill_count: 0
    .wavefront_size: 32
    .workgroup_processor_mode: 1
amdhsa.target:   amdgcn-amd-amdhsa--gfx1201
amdhsa.version:
  - 1
  - 2
...

	.end_amdgpu_metadata
